;; amdgpu-corpus repo=ROCm/rccl kind=compiled arch=gfx906 opt=O3
	.amdgcn_target "amdgcn-amd-amdhsa--gfx906"
	.amdhsa_code_object_version 6
	.text
	.p2align	2                               ; -- Begin function __ockl_fprintf_append_string_n
	.type	__ockl_fprintf_append_string_n,@function
__ockl_fprintf_append_string_n:         ; @__ockl_fprintf_append_string_n
; %bb.0:
	s_waitcnt vmcnt(0) expcnt(0) lgkmcnt(0)
	v_or_b32_e32 v2, 2, v0
	v_cmp_eq_u32_e32 vcc, 0, v6
	s_getpc_b64 s[4:5]
	s_add_u32 s4, s4, .str.3@rel32@lo+4
	s_addc_u32 s5, s5, .str.3@rel32@hi+12
	s_mov_b32 s20, 0
	v_cndmask_b32_e32 v36, v2, v0, vcc
	s_mov_b64 s[6:7], 0
	s_cmp_lg_u64 s[4:5], 0
	v_mbcnt_lo_u32_b32 v37, -1, 0
	s_cbranch_scc0 .LBB0_112
; %bb.1:
	s_load_dwordx2 s[10:11], s[8:9], 0x50
	s_getpc_b64 s[4:5]
	s_add_u32 s4, s4, .str.3@rel32@lo+4
	s_addc_u32 s5, s5, .str.3@rel32@hi+12
	v_and_b32_e32 v0, -3, v36
	v_mov_b32_e32 v31, s5
	v_mov_b32_e32 v11, v1
	v_and_b32_e32 v38, 2, v36
	v_mov_b32_e32 v3, 0
	v_mbcnt_hi_u32_b32 v39, -1, v37
	v_mov_b32_e32 v30, s4
	s_movk_i32 s21, 0x1e0
	v_mov_b32_e32 v8, 2
	v_mov_b32_e32 v9, 1
	;; [unrolled: 1-line block ×3, first 2 shown]
	s_branch .LBB0_3
.LBB0_2:                                ;   in Loop: Header=BB0_3 Depth=1
	s_or_b64 exec, exec, s[14:15]
	v_sub_co_u32_e32 v4, vcc, v4, v32
	v_subb_co_u32_e32 v5, vcc, v5, v33, vcc
	v_cmp_eq_u64_e32 vcc, 0, v[4:5]
	s_or_b64 s[6:7], vcc, s[6:7]
	v_add_co_u32_e32 v30, vcc, v30, v32
	v_addc_co_u32_e32 v31, vcc, v31, v33, vcc
	s_andn2_b64 exec, exec, s[6:7]
	s_cbranch_execz .LBB0_85
.LBB0_3:                                ; =>This Loop Header: Depth=1
                                        ;     Child Loop BB0_6 Depth 2
                                        ;     Child Loop BB0_14 Depth 2
	;; [unrolled: 1-line block ×11, first 2 shown]
	v_cmp_gt_u64_e32 vcc, 56, v[4:5]
	v_add_co_u32_e64 v16, s[4:5], 8, v30
	v_cndmask_b32_e32 v33, 0, v5, vcc
	v_cndmask_b32_e32 v32, 56, v4, vcc
	v_cmp_gt_u64_e32 vcc, 8, v[4:5]
	v_addc_co_u32_e64 v17, s[4:5], 0, v31, s[4:5]
	s_and_saveexec_b64 s[4:5], vcc
	s_xor_b64 s[4:5], exec, s[4:5]
	s_cbranch_execz .LBB0_9
; %bb.4:                                ;   in Loop: Header=BB0_3 Depth=1
	s_waitcnt vmcnt(0)
	v_mov_b32_e32 v12, 0
	v_cmp_ne_u64_e32 vcc, 0, v[4:5]
	v_mov_b32_e32 v13, 0
	s_and_saveexec_b64 s[12:13], vcc
	s_cbranch_execz .LBB0_8
; %bb.5:                                ;   in Loop: Header=BB0_3 Depth=1
	v_lshlrev_b64 v[6:7], 3, v[32:33]
	v_mov_b32_e32 v12, 0
	v_mov_b32_e32 v14, v30
	s_mov_b64 s[14:15], 0
	v_mov_b32_e32 v13, 0
	v_mov_b32_e32 v15, v31
	s_mov_b64 s[16:17], 0
.LBB0_6:                                ;   Parent Loop BB0_3 Depth=1
                                        ; =>  This Inner Loop Header: Depth=2
	global_load_ubyte v0, v[14:15], off
	v_mov_b32_e32 v17, s20
	v_add_co_u32_e32 v14, vcc, 1, v14
	v_addc_co_u32_e32 v15, vcc, 0, v15, vcc
	s_waitcnt vmcnt(0)
	v_and_b32_e32 v16, 0xffff, v0
	v_lshlrev_b64 v[16:17], s16, v[16:17]
	s_add_u32 s16, s16, 8
	s_addc_u32 s17, s17, 0
	v_cmp_eq_u32_e32 vcc, s16, v6
	v_or_b32_e32 v13, v17, v13
	s_or_b64 s[14:15], vcc, s[14:15]
	v_or_b32_e32 v12, v16, v12
	s_andn2_b64 exec, exec, s[14:15]
	s_cbranch_execnz .LBB0_6
; %bb.7:                                ;   in Loop: Header=BB0_3 Depth=1
	s_or_b64 exec, exec, s[14:15]
.LBB0_8:                                ;   in Loop: Header=BB0_3 Depth=1
	s_or_b64 exec, exec, s[12:13]
	v_mov_b32_e32 v16, v30
	v_mov_b32_e32 v17, v31
.LBB0_9:                                ;   in Loop: Header=BB0_3 Depth=1
	s_or_saveexec_b64 s[4:5], s[4:5]
	v_mov_b32_e32 v0, 0
	s_xor_b64 exec, exec, s[4:5]
	s_cbranch_execz .LBB0_11
; %bb.10:                               ;   in Loop: Header=BB0_3 Depth=1
	global_load_dwordx2 v[12:13], v[30:31], off
	v_add_u32_e32 v0, -8, v32
.LBB0_11:                               ;   in Loop: Header=BB0_3 Depth=1
	s_or_b64 exec, exec, s[4:5]
	v_add_co_u32_e64 v6, s[4:5], 8, v16
	v_cmp_gt_u32_e32 vcc, 8, v0
	v_addc_co_u32_e64 v7, s[4:5], 0, v17, s[4:5]
                                        ; implicit-def: $vgpr14_vgpr15
	s_and_saveexec_b64 s[4:5], vcc
	s_xor_b64 s[4:5], exec, s[4:5]
	s_cbranch_execz .LBB0_17
; %bb.12:                               ;   in Loop: Header=BB0_3 Depth=1
	v_mov_b32_e32 v14, 0
	v_mov_b32_e32 v15, 0
	v_cmp_ne_u32_e32 vcc, 0, v0
	s_and_saveexec_b64 s[12:13], vcc
	s_cbranch_execz .LBB0_16
; %bb.13:                               ;   in Loop: Header=BB0_3 Depth=1
	v_mov_b32_e32 v14, 0
	s_mov_b64 s[14:15], 0
	v_mov_b32_e32 v15, 0
	s_mov_b64 s[16:17], 0
	s_mov_b64 s[18:19], 0
.LBB0_14:                               ;   Parent Loop BB0_3 Depth=1
                                        ; =>  This Inner Loop Header: Depth=2
	v_mov_b32_e32 v2, s19
	v_add_co_u32_e32 v6, vcc, s18, v16
	v_addc_co_u32_e32 v7, vcc, v17, v2, vcc
	global_load_ubyte v2, v[6:7], off
	s_add_u32 s18, s18, 1
	v_mov_b32_e32 v7, s20
	s_addc_u32 s19, s19, 0
	v_cmp_eq_u32_e32 vcc, s18, v0
	s_waitcnt vmcnt(0)
	v_and_b32_e32 v6, 0xffff, v2
	v_lshlrev_b64 v[6:7], s16, v[6:7]
	s_add_u32 s16, s16, 8
	s_addc_u32 s17, s17, 0
	v_or_b32_e32 v15, v7, v15
	s_or_b64 s[14:15], vcc, s[14:15]
	v_or_b32_e32 v14, v6, v14
	s_andn2_b64 exec, exec, s[14:15]
	s_cbranch_execnz .LBB0_14
; %bb.15:                               ;   in Loop: Header=BB0_3 Depth=1
	s_or_b64 exec, exec, s[14:15]
.LBB0_16:                               ;   in Loop: Header=BB0_3 Depth=1
	s_or_b64 exec, exec, s[12:13]
	v_mov_b32_e32 v6, v16
	v_mov_b32_e32 v7, v17
                                        ; implicit-def: $vgpr0
.LBB0_17:                               ;   in Loop: Header=BB0_3 Depth=1
	s_or_saveexec_b64 s[4:5], s[4:5]
	v_mov_b32_e32 v2, 0
	s_xor_b64 exec, exec, s[4:5]
	s_cbranch_execz .LBB0_19
; %bb.18:                               ;   in Loop: Header=BB0_3 Depth=1
	global_load_dwordx2 v[14:15], v[16:17], off
	v_add_u32_e32 v2, -8, v0
.LBB0_19:                               ;   in Loop: Header=BB0_3 Depth=1
	s_or_b64 exec, exec, s[4:5]
	v_add_co_u32_e64 v20, s[4:5], 8, v6
	v_cmp_gt_u32_e32 vcc, 8, v2
	v_addc_co_u32_e64 v21, s[4:5], 0, v7, s[4:5]
	s_and_saveexec_b64 s[4:5], vcc
	s_xor_b64 s[4:5], exec, s[4:5]
	s_cbranch_execz .LBB0_25
; %bb.20:                               ;   in Loop: Header=BB0_3 Depth=1
	v_mov_b32_e32 v16, 0
	v_mov_b32_e32 v17, 0
	v_cmp_ne_u32_e32 vcc, 0, v2
	s_and_saveexec_b64 s[12:13], vcc
	s_cbranch_execz .LBB0_24
; %bb.21:                               ;   in Loop: Header=BB0_3 Depth=1
	v_mov_b32_e32 v16, 0
	s_mov_b64 s[14:15], 0
	v_mov_b32_e32 v17, 0
	s_mov_b64 s[16:17], 0
	s_mov_b64 s[18:19], 0
.LBB0_22:                               ;   Parent Loop BB0_3 Depth=1
                                        ; =>  This Inner Loop Header: Depth=2
	v_mov_b32_e32 v0, s19
	v_add_co_u32_e32 v18, vcc, s18, v6
	v_addc_co_u32_e32 v19, vcc, v7, v0, vcc
	global_load_ubyte v0, v[18:19], off
	s_add_u32 s18, s18, 1
	v_mov_b32_e32 v19, s20
	s_addc_u32 s19, s19, 0
	v_cmp_eq_u32_e32 vcc, s18, v2
	s_waitcnt vmcnt(0)
	v_and_b32_e32 v18, 0xffff, v0
	v_lshlrev_b64 v[18:19], s16, v[18:19]
	s_add_u32 s16, s16, 8
	s_addc_u32 s17, s17, 0
	v_or_b32_e32 v17, v19, v17
	s_or_b64 s[14:15], vcc, s[14:15]
	v_or_b32_e32 v16, v18, v16
	s_andn2_b64 exec, exec, s[14:15]
	s_cbranch_execnz .LBB0_22
; %bb.23:                               ;   in Loop: Header=BB0_3 Depth=1
	s_or_b64 exec, exec, s[14:15]
.LBB0_24:                               ;   in Loop: Header=BB0_3 Depth=1
	s_or_b64 exec, exec, s[12:13]
	v_mov_b32_e32 v21, v7
	v_mov_b32_e32 v20, v6
                                        ; implicit-def: $vgpr2
.LBB0_25:                               ;   in Loop: Header=BB0_3 Depth=1
	s_or_saveexec_b64 s[4:5], s[4:5]
	v_mov_b32_e32 v0, 0
	s_xor_b64 exec, exec, s[4:5]
	s_cbranch_execz .LBB0_27
; %bb.26:                               ;   in Loop: Header=BB0_3 Depth=1
	global_load_dwordx2 v[16:17], v[6:7], off
	v_add_u32_e32 v0, -8, v2
.LBB0_27:                               ;   in Loop: Header=BB0_3 Depth=1
	s_or_b64 exec, exec, s[4:5]
	v_add_co_u32_e64 v6, s[4:5], 8, v20
	v_cmp_gt_u32_e32 vcc, 8, v0
	v_addc_co_u32_e64 v7, s[4:5], 0, v21, s[4:5]
                                        ; implicit-def: $vgpr18_vgpr19
	s_and_saveexec_b64 s[4:5], vcc
	s_xor_b64 s[4:5], exec, s[4:5]
	s_cbranch_execz .LBB0_33
; %bb.28:                               ;   in Loop: Header=BB0_3 Depth=1
	v_mov_b32_e32 v18, 0
	v_mov_b32_e32 v19, 0
	v_cmp_ne_u32_e32 vcc, 0, v0
	s_and_saveexec_b64 s[12:13], vcc
	s_cbranch_execz .LBB0_32
; %bb.29:                               ;   in Loop: Header=BB0_3 Depth=1
	v_mov_b32_e32 v18, 0
	s_mov_b64 s[14:15], 0
	v_mov_b32_e32 v19, 0
	s_mov_b64 s[16:17], 0
	s_mov_b64 s[18:19], 0
.LBB0_30:                               ;   Parent Loop BB0_3 Depth=1
                                        ; =>  This Inner Loop Header: Depth=2
	v_mov_b32_e32 v2, s19
	v_add_co_u32_e32 v6, vcc, s18, v20
	v_addc_co_u32_e32 v7, vcc, v21, v2, vcc
	global_load_ubyte v2, v[6:7], off
	s_add_u32 s18, s18, 1
	v_mov_b32_e32 v7, s20
	s_addc_u32 s19, s19, 0
	v_cmp_eq_u32_e32 vcc, s18, v0
	s_waitcnt vmcnt(0)
	v_and_b32_e32 v6, 0xffff, v2
	v_lshlrev_b64 v[6:7], s16, v[6:7]
	s_add_u32 s16, s16, 8
	s_addc_u32 s17, s17, 0
	v_or_b32_e32 v19, v7, v19
	s_or_b64 s[14:15], vcc, s[14:15]
	v_or_b32_e32 v18, v6, v18
	s_andn2_b64 exec, exec, s[14:15]
	s_cbranch_execnz .LBB0_30
; %bb.31:                               ;   in Loop: Header=BB0_3 Depth=1
	s_or_b64 exec, exec, s[14:15]
.LBB0_32:                               ;   in Loop: Header=BB0_3 Depth=1
	s_or_b64 exec, exec, s[12:13]
	v_mov_b32_e32 v6, v20
	v_mov_b32_e32 v7, v21
                                        ; implicit-def: $vgpr0
.LBB0_33:                               ;   in Loop: Header=BB0_3 Depth=1
	s_or_saveexec_b64 s[4:5], s[4:5]
	v_mov_b32_e32 v2, 0
	s_xor_b64 exec, exec, s[4:5]
	s_cbranch_execz .LBB0_35
; %bb.34:                               ;   in Loop: Header=BB0_3 Depth=1
	global_load_dwordx2 v[18:19], v[20:21], off
	v_add_u32_e32 v2, -8, v0
.LBB0_35:                               ;   in Loop: Header=BB0_3 Depth=1
	s_or_b64 exec, exec, s[4:5]
	v_add_co_u32_e64 v24, s[4:5], 8, v6
	v_cmp_gt_u32_e32 vcc, 8, v2
	v_addc_co_u32_e64 v25, s[4:5], 0, v7, s[4:5]
	s_and_saveexec_b64 s[4:5], vcc
	s_xor_b64 s[4:5], exec, s[4:5]
	s_cbranch_execz .LBB0_41
; %bb.36:                               ;   in Loop: Header=BB0_3 Depth=1
	v_mov_b32_e32 v20, 0
	v_mov_b32_e32 v21, 0
	v_cmp_ne_u32_e32 vcc, 0, v2
	s_and_saveexec_b64 s[12:13], vcc
	s_cbranch_execz .LBB0_40
; %bb.37:                               ;   in Loop: Header=BB0_3 Depth=1
	v_mov_b32_e32 v20, 0
	s_mov_b64 s[14:15], 0
	v_mov_b32_e32 v21, 0
	s_mov_b64 s[16:17], 0
	s_mov_b64 s[18:19], 0
.LBB0_38:                               ;   Parent Loop BB0_3 Depth=1
                                        ; =>  This Inner Loop Header: Depth=2
	v_mov_b32_e32 v0, s19
	v_add_co_u32_e32 v22, vcc, s18, v6
	v_addc_co_u32_e32 v23, vcc, v7, v0, vcc
	global_load_ubyte v0, v[22:23], off
	s_add_u32 s18, s18, 1
	v_mov_b32_e32 v23, s20
	s_addc_u32 s19, s19, 0
	v_cmp_eq_u32_e32 vcc, s18, v2
	s_waitcnt vmcnt(0)
	v_and_b32_e32 v22, 0xffff, v0
	v_lshlrev_b64 v[22:23], s16, v[22:23]
	s_add_u32 s16, s16, 8
	s_addc_u32 s17, s17, 0
	v_or_b32_e32 v21, v23, v21
	s_or_b64 s[14:15], vcc, s[14:15]
	v_or_b32_e32 v20, v22, v20
	s_andn2_b64 exec, exec, s[14:15]
	s_cbranch_execnz .LBB0_38
; %bb.39:                               ;   in Loop: Header=BB0_3 Depth=1
	s_or_b64 exec, exec, s[14:15]
.LBB0_40:                               ;   in Loop: Header=BB0_3 Depth=1
	s_or_b64 exec, exec, s[12:13]
	v_mov_b32_e32 v25, v7
	v_mov_b32_e32 v24, v6
                                        ; implicit-def: $vgpr2
.LBB0_41:                               ;   in Loop: Header=BB0_3 Depth=1
	s_or_saveexec_b64 s[4:5], s[4:5]
	v_mov_b32_e32 v0, 0
	s_xor_b64 exec, exec, s[4:5]
	s_cbranch_execz .LBB0_43
; %bb.42:                               ;   in Loop: Header=BB0_3 Depth=1
	global_load_dwordx2 v[20:21], v[6:7], off
	v_add_u32_e32 v0, -8, v2
.LBB0_43:                               ;   in Loop: Header=BB0_3 Depth=1
	s_or_b64 exec, exec, s[4:5]
	v_add_co_u32_e64 v6, s[4:5], 8, v24
	v_cmp_gt_u32_e32 vcc, 8, v0
	v_addc_co_u32_e64 v7, s[4:5], 0, v25, s[4:5]
                                        ; implicit-def: $vgpr22_vgpr23
	s_and_saveexec_b64 s[4:5], vcc
	s_xor_b64 s[4:5], exec, s[4:5]
	s_cbranch_execz .LBB0_49
; %bb.44:                               ;   in Loop: Header=BB0_3 Depth=1
	v_mov_b32_e32 v22, 0
	v_mov_b32_e32 v23, 0
	v_cmp_ne_u32_e32 vcc, 0, v0
	s_and_saveexec_b64 s[12:13], vcc
	s_cbranch_execz .LBB0_48
; %bb.45:                               ;   in Loop: Header=BB0_3 Depth=1
	v_mov_b32_e32 v22, 0
	s_mov_b64 s[14:15], 0
	v_mov_b32_e32 v23, 0
	s_mov_b64 s[16:17], 0
	s_mov_b64 s[18:19], 0
.LBB0_46:                               ;   Parent Loop BB0_3 Depth=1
                                        ; =>  This Inner Loop Header: Depth=2
	v_mov_b32_e32 v2, s19
	v_add_co_u32_e32 v6, vcc, s18, v24
	v_addc_co_u32_e32 v7, vcc, v25, v2, vcc
	global_load_ubyte v2, v[6:7], off
	s_add_u32 s18, s18, 1
	v_mov_b32_e32 v7, s20
	s_addc_u32 s19, s19, 0
	v_cmp_eq_u32_e32 vcc, s18, v0
	s_waitcnt vmcnt(0)
	v_and_b32_e32 v6, 0xffff, v2
	v_lshlrev_b64 v[6:7], s16, v[6:7]
	s_add_u32 s16, s16, 8
	s_addc_u32 s17, s17, 0
	v_or_b32_e32 v23, v7, v23
	s_or_b64 s[14:15], vcc, s[14:15]
	v_or_b32_e32 v22, v6, v22
	s_andn2_b64 exec, exec, s[14:15]
	s_cbranch_execnz .LBB0_46
; %bb.47:                               ;   in Loop: Header=BB0_3 Depth=1
	s_or_b64 exec, exec, s[14:15]
.LBB0_48:                               ;   in Loop: Header=BB0_3 Depth=1
	s_or_b64 exec, exec, s[12:13]
	v_mov_b32_e32 v6, v24
	v_mov_b32_e32 v7, v25
                                        ; implicit-def: $vgpr0
.LBB0_49:                               ;   in Loop: Header=BB0_3 Depth=1
	s_or_saveexec_b64 s[4:5], s[4:5]
	v_mov_b32_e32 v2, 0
	s_xor_b64 exec, exec, s[4:5]
	s_cbranch_execz .LBB0_51
; %bb.50:                               ;   in Loop: Header=BB0_3 Depth=1
	global_load_dwordx2 v[22:23], v[24:25], off
	v_add_u32_e32 v2, -8, v0
.LBB0_51:                               ;   in Loop: Header=BB0_3 Depth=1
	s_or_b64 exec, exec, s[4:5]
	v_cmp_gt_u32_e32 vcc, 8, v2
	s_and_saveexec_b64 s[4:5], vcc
	s_xor_b64 s[4:5], exec, s[4:5]
	s_cbranch_execz .LBB0_57
; %bb.52:                               ;   in Loop: Header=BB0_3 Depth=1
	v_mov_b32_e32 v24, 0
	v_mov_b32_e32 v25, 0
	v_cmp_ne_u32_e32 vcc, 0, v2
	s_and_saveexec_b64 s[12:13], vcc
	s_cbranch_execz .LBB0_56
; %bb.53:                               ;   in Loop: Header=BB0_3 Depth=1
	v_mov_b32_e32 v24, 0
	s_mov_b64 s[14:15], 0
	v_mov_b32_e32 v25, 0
	s_mov_b64 s[16:17], 0
.LBB0_54:                               ;   Parent Loop BB0_3 Depth=1
                                        ; =>  This Inner Loop Header: Depth=2
	global_load_ubyte v0, v[6:7], off
	v_mov_b32_e32 v27, s20
	v_add_co_u32_e32 v6, vcc, 1, v6
	v_add_u32_e32 v2, -1, v2
	v_addc_co_u32_e32 v7, vcc, 0, v7, vcc
	v_cmp_eq_u32_e32 vcc, 0, v2
	s_waitcnt vmcnt(0)
	v_and_b32_e32 v26, 0xffff, v0
	v_lshlrev_b64 v[26:27], s16, v[26:27]
	s_add_u32 s16, s16, 8
	s_addc_u32 s17, s17, 0
	v_or_b32_e32 v25, v27, v25
	s_or_b64 s[14:15], vcc, s[14:15]
	v_or_b32_e32 v24, v26, v24
	s_andn2_b64 exec, exec, s[14:15]
	s_cbranch_execnz .LBB0_54
; %bb.55:                               ;   in Loop: Header=BB0_3 Depth=1
	s_or_b64 exec, exec, s[14:15]
.LBB0_56:                               ;   in Loop: Header=BB0_3 Depth=1
	s_or_b64 exec, exec, s[12:13]
                                        ; implicit-def: $vgpr6_vgpr7
.LBB0_57:                               ;   in Loop: Header=BB0_3 Depth=1
	s_andn2_saveexec_b64 s[4:5], s[4:5]
	s_cbranch_execz .LBB0_59
; %bb.58:                               ;   in Loop: Header=BB0_3 Depth=1
	global_load_dwordx2 v[24:25], v[6:7], off
.LBB0_59:                               ;   in Loop: Header=BB0_3 Depth=1
	s_or_b64 exec, exec, s[4:5]
	v_readfirstlane_b32 s4, v39
	v_mov_b32_e32 v6, 0
	v_mov_b32_e32 v7, 0
	v_cmp_eq_u32_e64 s[4:5], s4, v39
	s_and_saveexec_b64 s[12:13], s[4:5]
	s_cbranch_execz .LBB0_65
; %bb.60:                               ;   in Loop: Header=BB0_3 Depth=1
	s_waitcnt lgkmcnt(0)
	global_load_dwordx2 v[28:29], v3, s[10:11] offset:24 glc
	s_waitcnt vmcnt(0)
	buffer_wbinvl1_vol
	global_load_dwordx2 v[6:7], v3, s[10:11] offset:40
	global_load_dwordx2 v[26:27], v3, s[10:11]
	s_waitcnt vmcnt(1)
	v_and_b32_e32 v0, v6, v28
	v_and_b32_e32 v2, v7, v29
	v_mul_lo_u32 v2, v2, 24
	v_mul_hi_u32 v6, v0, 24
	v_mul_lo_u32 v0, v0, 24
	v_add_u32_e32 v2, v6, v2
	s_waitcnt vmcnt(0)
	v_add_co_u32_e32 v6, vcc, v26, v0
	v_addc_co_u32_e32 v7, vcc, v27, v2, vcc
	global_load_dwordx2 v[26:27], v[6:7], off glc
	s_waitcnt vmcnt(0)
	global_atomic_cmpswap_x2 v[6:7], v3, v[26:29], s[10:11] offset:24 glc
	s_waitcnt vmcnt(0)
	buffer_wbinvl1_vol
	v_cmp_ne_u64_e32 vcc, v[6:7], v[28:29]
	s_and_saveexec_b64 s[14:15], vcc
	s_cbranch_execz .LBB0_64
; %bb.61:                               ;   in Loop: Header=BB0_3 Depth=1
	s_mov_b64 s[16:17], 0
.LBB0_62:                               ;   Parent Loop BB0_3 Depth=1
                                        ; =>  This Inner Loop Header: Depth=2
	s_sleep 1
	global_load_dwordx2 v[26:27], v3, s[10:11] offset:40
	global_load_dwordx2 v[34:35], v3, s[10:11]
	v_mov_b32_e32 v29, v7
	v_mov_b32_e32 v28, v6
	s_waitcnt vmcnt(1)
	v_and_b32_e32 v0, v26, v28
	s_waitcnt vmcnt(0)
	v_mad_u64_u32 v[6:7], s[18:19], v0, 24, v[34:35]
	v_and_b32_e32 v2, v27, v29
	v_mov_b32_e32 v0, v7
	v_mad_u64_u32 v[26:27], s[18:19], v2, 24, v[0:1]
	v_mov_b32_e32 v7, v26
	global_load_dwordx2 v[26:27], v[6:7], off glc
	s_waitcnt vmcnt(0)
	global_atomic_cmpswap_x2 v[6:7], v3, v[26:29], s[10:11] offset:24 glc
	s_waitcnt vmcnt(0)
	buffer_wbinvl1_vol
	v_cmp_eq_u64_e32 vcc, v[6:7], v[28:29]
	s_or_b64 s[16:17], vcc, s[16:17]
	s_andn2_b64 exec, exec, s[16:17]
	s_cbranch_execnz .LBB0_62
; %bb.63:                               ;   in Loop: Header=BB0_3 Depth=1
	s_or_b64 exec, exec, s[16:17]
.LBB0_64:                               ;   in Loop: Header=BB0_3 Depth=1
	s_or_b64 exec, exec, s[14:15]
.LBB0_65:                               ;   in Loop: Header=BB0_3 Depth=1
	s_or_b64 exec, exec, s[12:13]
	s_waitcnt lgkmcnt(0)
	global_load_dwordx2 v[34:35], v3, s[10:11] offset:40
	global_load_dwordx4 v[26:29], v3, s[10:11]
	v_readfirstlane_b32 s13, v7
	v_readfirstlane_b32 s12, v6
	s_mov_b64 s[14:15], exec
	s_waitcnt vmcnt(1)
	v_readfirstlane_b32 s16, v34
	v_readfirstlane_b32 s17, v35
	s_and_b64 s[16:17], s[16:17], s[12:13]
	s_mul_i32 s18, s17, 24
	s_mul_hi_u32 s19, s16, 24
	s_mul_i32 s22, s16, 24
	s_add_i32 s18, s19, s18
	v_mov_b32_e32 v0, s18
	s_waitcnt vmcnt(0)
	v_add_co_u32_e32 v34, vcc, s22, v26
	v_addc_co_u32_e32 v35, vcc, v27, v0, vcc
	s_and_saveexec_b64 s[18:19], s[4:5]
	s_cbranch_execz .LBB0_67
; %bb.66:                               ;   in Loop: Header=BB0_3 Depth=1
	v_mov_b32_e32 v6, s14
	v_mov_b32_e32 v7, s15
	global_store_dwordx4 v[34:35], v[6:9], off offset:8
.LBB0_67:                               ;   in Loop: Header=BB0_3 Depth=1
	s_or_b64 exec, exec, s[18:19]
	s_lshl_b64 s[14:15], s[16:17], 12
	v_mov_b32_e32 v2, s15
	v_add_co_u32_e32 v0, vcc, s14, v28
	v_addc_co_u32_e32 v28, vcc, v29, v2, vcc
	v_cmp_gt_u64_e32 vcc, 57, v[4:5]
	v_and_b32_e32 v7, 0xffffff1f, v10
	v_cndmask_b32_e32 v2, 0, v38, vcc
	v_lshl_add_u32 v6, v32, 2, 28
	v_or_b32_e32 v2, v7, v2
	v_and_or_b32 v10, v6, s21, v2
	v_lshlrev_b32_e32 v29, 6, v39
	v_readfirstlane_b32 s14, v0
	v_readfirstlane_b32 s15, v28
	s_nop 4
	global_store_dwordx4 v29, v[10:13], s[14:15]
	global_store_dwordx4 v29, v[14:17], s[14:15] offset:16
	global_store_dwordx4 v29, v[18:21], s[14:15] offset:32
	;; [unrolled: 1-line block ×3, first 2 shown]
	s_and_saveexec_b64 s[14:15], s[4:5]
	s_cbranch_execz .LBB0_75
; %bb.68:                               ;   in Loop: Header=BB0_3 Depth=1
	global_load_dwordx2 v[14:15], v3, s[10:11] offset:32 glc
	global_load_dwordx2 v[6:7], v3, s[10:11] offset:40
	v_mov_b32_e32 v12, s12
	v_mov_b32_e32 v13, s13
	s_waitcnt vmcnt(0)
	v_readfirstlane_b32 s16, v6
	v_readfirstlane_b32 s17, v7
	s_and_b64 s[16:17], s[16:17], s[12:13]
	s_mul_i32 s17, s17, 24
	s_mul_hi_u32 s18, s16, 24
	s_mul_i32 s16, s16, 24
	s_add_i32 s17, s18, s17
	v_mov_b32_e32 v2, s17
	v_add_co_u32_e32 v6, vcc, s16, v26
	v_addc_co_u32_e32 v7, vcc, v27, v2, vcc
	global_store_dwordx2 v[6:7], v[14:15], off
	s_waitcnt vmcnt(0)
	global_atomic_cmpswap_x2 v[12:13], v3, v[12:15], s[10:11] offset:32 glc
	s_waitcnt vmcnt(0)
	v_cmp_ne_u64_e32 vcc, v[12:13], v[14:15]
	s_and_saveexec_b64 s[16:17], vcc
	s_cbranch_execz .LBB0_71
; %bb.69:                               ;   in Loop: Header=BB0_3 Depth=1
	s_mov_b64 s[18:19], 0
.LBB0_70:                               ;   Parent Loop BB0_3 Depth=1
                                        ; =>  This Inner Loop Header: Depth=2
	s_sleep 1
	global_store_dwordx2 v[6:7], v[12:13], off
	v_mov_b32_e32 v10, s12
	v_mov_b32_e32 v11, s13
	s_waitcnt vmcnt(0)
	global_atomic_cmpswap_x2 v[10:11], v3, v[10:13], s[10:11] offset:32 glc
	s_waitcnt vmcnt(0)
	v_cmp_eq_u64_e32 vcc, v[10:11], v[12:13]
	v_mov_b32_e32 v13, v11
	s_or_b64 s[18:19], vcc, s[18:19]
	v_mov_b32_e32 v12, v10
	s_andn2_b64 exec, exec, s[18:19]
	s_cbranch_execnz .LBB0_70
.LBB0_71:                               ;   in Loop: Header=BB0_3 Depth=1
	s_or_b64 exec, exec, s[16:17]
	global_load_dwordx2 v[6:7], v3, s[10:11] offset:16
	s_mov_b64 s[18:19], exec
	v_mbcnt_lo_u32_b32 v2, s18, 0
	v_mbcnt_hi_u32_b32 v2, s19, v2
	v_cmp_eq_u32_e32 vcc, 0, v2
	s_and_saveexec_b64 s[16:17], vcc
	s_cbranch_execz .LBB0_73
; %bb.72:                               ;   in Loop: Header=BB0_3 Depth=1
	s_bcnt1_i32_b64 s18, s[18:19]
	v_mov_b32_e32 v2, s18
	s_waitcnt vmcnt(0)
	global_atomic_add_x2 v[6:7], v[2:3], off offset:8
.LBB0_73:                               ;   in Loop: Header=BB0_3 Depth=1
	s_or_b64 exec, exec, s[16:17]
	s_waitcnt vmcnt(0)
	global_load_dwordx2 v[10:11], v[6:7], off offset:16
	s_waitcnt vmcnt(0)
	v_cmp_eq_u64_e32 vcc, 0, v[10:11]
	s_cbranch_vccnz .LBB0_75
; %bb.74:                               ;   in Loop: Header=BB0_3 Depth=1
	global_load_dword v2, v[6:7], off offset:24
	s_waitcnt vmcnt(0)
	v_readfirstlane_b32 s16, v2
	s_and_b32 m0, s16, 0xffffff
	global_store_dwordx2 v[10:11], v[2:3], off
	s_sendmsg sendmsg(MSG_INTERRUPT)
.LBB0_75:                               ;   in Loop: Header=BB0_3 Depth=1
	s_or_b64 exec, exec, s[14:15]
	v_add_co_u32_e32 v6, vcc, v0, v29
	v_addc_co_u32_e32 v7, vcc, 0, v28, vcc
	s_branch .LBB0_79
.LBB0_76:                               ;   in Loop: Header=BB0_79 Depth=2
	s_or_b64 exec, exec, s[14:15]
	v_readfirstlane_b32 s14, v0
	s_cmp_eq_u32 s14, 0
	s_cbranch_scc1 .LBB0_78
; %bb.77:                               ;   in Loop: Header=BB0_79 Depth=2
	s_sleep 1
	s_cbranch_execnz .LBB0_79
	s_branch .LBB0_81
.LBB0_78:                               ;   in Loop: Header=BB0_3 Depth=1
	s_branch .LBB0_81
.LBB0_79:                               ;   Parent Loop BB0_3 Depth=1
                                        ; =>  This Inner Loop Header: Depth=2
	v_mov_b32_e32 v0, 1
	s_and_saveexec_b64 s[14:15], s[4:5]
	s_cbranch_execz .LBB0_76
; %bb.80:                               ;   in Loop: Header=BB0_79 Depth=2
	global_load_dword v0, v[34:35], off offset:20 glc
	s_waitcnt vmcnt(0)
	buffer_wbinvl1_vol
	v_and_b32_e32 v0, 1, v0
	s_branch .LBB0_76
.LBB0_81:                               ;   in Loop: Header=BB0_3 Depth=1
	global_load_dwordx4 v[10:13], v[6:7], off
	s_and_saveexec_b64 s[14:15], s[4:5]
	s_cbranch_execz .LBB0_2
; %bb.82:                               ;   in Loop: Header=BB0_3 Depth=1
	global_load_dwordx2 v[6:7], v3, s[10:11] offset:40
	global_load_dwordx2 v[16:17], v3, s[10:11] offset:24 glc
	global_load_dwordx2 v[12:13], v3, s[10:11]
	s_waitcnt vmcnt(2)
	v_readfirstlane_b32 s16, v6
	v_readfirstlane_b32 s17, v7
	s_add_u32 s18, s16, 1
	s_addc_u32 s19, s17, 0
	s_add_u32 s4, s18, s12
	s_addc_u32 s5, s19, s13
	s_cmp_eq_u64 s[4:5], 0
	s_cselect_b32 s5, s19, s5
	s_cselect_b32 s4, s18, s4
	s_and_b64 s[12:13], s[4:5], s[16:17]
	s_mul_i32 s13, s13, 24
	s_mul_hi_u32 s16, s12, 24
	s_mul_i32 s12, s12, 24
	s_add_i32 s13, s16, s13
	v_mov_b32_e32 v0, s13
	s_waitcnt vmcnt(0)
	v_add_co_u32_e32 v6, vcc, s12, v12
	v_addc_co_u32_e32 v7, vcc, v13, v0, vcc
	v_mov_b32_e32 v14, s4
	global_store_dwordx2 v[6:7], v[16:17], off
	v_mov_b32_e32 v15, s5
	s_waitcnt vmcnt(0)
	global_atomic_cmpswap_x2 v[14:15], v3, v[14:17], s[10:11] offset:24 glc
	s_waitcnt vmcnt(0)
	v_cmp_ne_u64_e32 vcc, v[14:15], v[16:17]
	s_and_b64 exec, exec, vcc
	s_cbranch_execz .LBB0_2
; %bb.83:                               ;   in Loop: Header=BB0_3 Depth=1
	s_mov_b64 s[12:13], 0
.LBB0_84:                               ;   Parent Loop BB0_3 Depth=1
                                        ; =>  This Inner Loop Header: Depth=2
	s_sleep 1
	global_store_dwordx2 v[6:7], v[14:15], off
	v_mov_b32_e32 v12, s4
	v_mov_b32_e32 v13, s5
	s_waitcnt vmcnt(0)
	global_atomic_cmpswap_x2 v[12:13], v3, v[12:15], s[10:11] offset:24 glc
	s_waitcnt vmcnt(0)
	v_cmp_eq_u64_e32 vcc, v[12:13], v[14:15]
	v_mov_b32_e32 v15, v13
	s_or_b64 s[12:13], vcc, s[12:13]
	v_mov_b32_e32 v14, v12
	s_andn2_b64 exec, exec, s[12:13]
	s_cbranch_execnz .LBB0_84
	s_branch .LBB0_2
.LBB0_85:
	s_or_b64 exec, exec, s[6:7]
	s_branch .LBB0_113
.LBB0_86:
	s_load_dwordx2 s[6:7], s[8:9], 0x50
	v_mbcnt_hi_u32_b32 v3, -1, v37
	v_readfirstlane_b32 s4, v3
	v_mov_b32_e32 v8, 0
	v_mov_b32_e32 v9, 0
	v_cmp_eq_u32_e64 s[4:5], s4, v3
	s_and_saveexec_b64 s[8:9], s[4:5]
	s_cbranch_execz .LBB0_92
; %bb.87:
	v_mov_b32_e32 v0, 0
	s_waitcnt lgkmcnt(0)
	global_load_dwordx2 v[6:7], v0, s[6:7] offset:24 glc
	s_waitcnt vmcnt(0)
	buffer_wbinvl1_vol
	global_load_dwordx2 v[4:5], v0, s[6:7] offset:40
	global_load_dwordx2 v[8:9], v0, s[6:7]
	s_waitcnt vmcnt(1)
	v_and_b32_e32 v2, v4, v6
	v_and_b32_e32 v4, v5, v7
	v_mul_lo_u32 v4, v4, 24
	v_mul_hi_u32 v5, v2, 24
	v_mul_lo_u32 v2, v2, 24
	v_add_u32_e32 v5, v5, v4
	s_waitcnt vmcnt(0)
	v_add_co_u32_e32 v4, vcc, v8, v2
	v_addc_co_u32_e32 v5, vcc, v9, v5, vcc
	global_load_dwordx2 v[4:5], v[4:5], off glc
	s_waitcnt vmcnt(0)
	global_atomic_cmpswap_x2 v[8:9], v0, v[4:7], s[6:7] offset:24 glc
	s_waitcnt vmcnt(0)
	buffer_wbinvl1_vol
	v_cmp_ne_u64_e32 vcc, v[8:9], v[6:7]
	s_and_saveexec_b64 s[10:11], vcc
	s_cbranch_execz .LBB0_91
; %bb.88:
	s_mov_b64 s[12:13], 0
.LBB0_89:                               ; =>This Inner Loop Header: Depth=1
	s_sleep 1
	global_load_dwordx2 v[4:5], v0, s[6:7] offset:40
	global_load_dwordx2 v[10:11], v0, s[6:7]
	v_mov_b32_e32 v6, v8
	v_mov_b32_e32 v7, v9
	s_waitcnt vmcnt(1)
	v_and_b32_e32 v2, v4, v6
	s_waitcnt vmcnt(0)
	v_mad_u64_u32 v[8:9], s[14:15], v2, 24, v[10:11]
	v_and_b32_e32 v4, v5, v7
	v_mov_b32_e32 v2, v9
	v_mad_u64_u32 v[4:5], s[14:15], v4, 24, v[2:3]
	v_mov_b32_e32 v9, v4
	global_load_dwordx2 v[4:5], v[8:9], off glc
	s_waitcnt vmcnt(0)
	global_atomic_cmpswap_x2 v[8:9], v0, v[4:7], s[6:7] offset:24 glc
	s_waitcnt vmcnt(0)
	buffer_wbinvl1_vol
	v_cmp_eq_u64_e32 vcc, v[8:9], v[6:7]
	s_or_b64 s[12:13], vcc, s[12:13]
	s_andn2_b64 exec, exec, s[12:13]
	s_cbranch_execnz .LBB0_89
; %bb.90:
	s_or_b64 exec, exec, s[12:13]
.LBB0_91:
	s_or_b64 exec, exec, s[10:11]
.LBB0_92:
	s_or_b64 exec, exec, s[8:9]
	v_mov_b32_e32 v2, 0
	s_waitcnt lgkmcnt(0)
	global_load_dwordx2 v[10:11], v2, s[6:7] offset:40
	global_load_dwordx4 v[4:7], v2, s[6:7]
	v_readfirstlane_b32 s9, v9
	v_readfirstlane_b32 s8, v8
	s_mov_b64 s[10:11], exec
	s_waitcnt vmcnt(1)
	v_readfirstlane_b32 s12, v10
	v_readfirstlane_b32 s13, v11
	s_and_b64 s[12:13], s[12:13], s[8:9]
	s_mul_i32 s14, s13, 24
	s_mul_hi_u32 s15, s12, 24
	s_mul_i32 s16, s12, 24
	s_add_i32 s14, s15, s14
	v_mov_b32_e32 v0, s14
	s_waitcnt vmcnt(0)
	v_add_co_u32_e32 v8, vcc, s16, v4
	v_addc_co_u32_e32 v9, vcc, v5, v0, vcc
	s_and_saveexec_b64 s[14:15], s[4:5]
	s_cbranch_execz .LBB0_94
; %bb.93:
	v_mov_b32_e32 v10, s10
	v_mov_b32_e32 v11, s11
	;; [unrolled: 1-line block ×4, first 2 shown]
	global_store_dwordx4 v[8:9], v[10:13], off offset:8
.LBB0_94:
	s_or_b64 exec, exec, s[14:15]
	s_lshl_b64 s[10:11], s[12:13], 12
	v_mov_b32_e32 v0, s11
	v_add_co_u32_e32 v6, vcc, s10, v6
	v_addc_co_u32_e32 v7, vcc, v7, v0, vcc
	s_movk_i32 s10, 0xff1f
	v_and_or_b32 v0, v36, s10, 32
	v_lshlrev_b32_e32 v10, 6, v3
	s_mov_b32 s12, 0
	v_mov_b32_e32 v3, v2
	v_readfirstlane_b32 s10, v6
	v_readfirstlane_b32 s11, v7
	s_mov_b32 s13, s12
	s_mov_b32 s14, s12
	;; [unrolled: 1-line block ×3, first 2 shown]
	s_nop 1
	global_store_dwordx4 v10, v[0:3], s[10:11]
	s_nop 0
	v_mov_b32_e32 v0, s12
	v_mov_b32_e32 v1, s13
	;; [unrolled: 1-line block ×4, first 2 shown]
	global_store_dwordx4 v10, v[0:3], s[10:11] offset:16
	global_store_dwordx4 v10, v[0:3], s[10:11] offset:32
	;; [unrolled: 1-line block ×3, first 2 shown]
	s_and_saveexec_b64 s[10:11], s[4:5]
	s_cbranch_execz .LBB0_102
; %bb.95:
	v_mov_b32_e32 v6, 0
	global_load_dwordx2 v[12:13], v6, s[6:7] offset:32 glc
	global_load_dwordx2 v[0:1], v6, s[6:7] offset:40
	v_mov_b32_e32 v10, s8
	v_mov_b32_e32 v11, s9
	s_waitcnt vmcnt(0)
	v_and_b32_e32 v0, s8, v0
	v_and_b32_e32 v1, s9, v1
	v_mul_lo_u32 v1, v1, 24
	v_mul_hi_u32 v2, v0, 24
	v_mul_lo_u32 v0, v0, 24
	v_add_u32_e32 v1, v2, v1
	v_add_co_u32_e32 v4, vcc, v4, v0
	v_addc_co_u32_e32 v5, vcc, v5, v1, vcc
	global_store_dwordx2 v[4:5], v[12:13], off
	s_waitcnt vmcnt(0)
	global_atomic_cmpswap_x2 v[2:3], v6, v[10:13], s[6:7] offset:32 glc
	s_waitcnt vmcnt(0)
	v_cmp_ne_u64_e32 vcc, v[2:3], v[12:13]
	s_and_saveexec_b64 s[12:13], vcc
	s_cbranch_execz .LBB0_98
; %bb.96:
	s_mov_b64 s[14:15], 0
.LBB0_97:                               ; =>This Inner Loop Header: Depth=1
	s_sleep 1
	global_store_dwordx2 v[4:5], v[2:3], off
	v_mov_b32_e32 v0, s8
	v_mov_b32_e32 v1, s9
	s_waitcnt vmcnt(0)
	global_atomic_cmpswap_x2 v[0:1], v6, v[0:3], s[6:7] offset:32 glc
	s_waitcnt vmcnt(0)
	v_cmp_eq_u64_e32 vcc, v[0:1], v[2:3]
	v_mov_b32_e32 v3, v1
	s_or_b64 s[14:15], vcc, s[14:15]
	v_mov_b32_e32 v2, v0
	s_andn2_b64 exec, exec, s[14:15]
	s_cbranch_execnz .LBB0_97
.LBB0_98:
	s_or_b64 exec, exec, s[12:13]
	v_mov_b32_e32 v3, 0
	global_load_dwordx2 v[0:1], v3, s[6:7] offset:16
	s_mov_b64 s[12:13], exec
	v_mbcnt_lo_u32_b32 v2, s12, 0
	v_mbcnt_hi_u32_b32 v2, s13, v2
	v_cmp_eq_u32_e32 vcc, 0, v2
	s_and_saveexec_b64 s[14:15], vcc
	s_cbranch_execz .LBB0_100
; %bb.99:
	s_bcnt1_i32_b64 s12, s[12:13]
	v_mov_b32_e32 v2, s12
	s_waitcnt vmcnt(0)
	global_atomic_add_x2 v[0:1], v[2:3], off offset:8
.LBB0_100:
	s_or_b64 exec, exec, s[14:15]
	s_waitcnt vmcnt(0)
	global_load_dwordx2 v[2:3], v[0:1], off offset:16
	s_waitcnt vmcnt(0)
	v_cmp_eq_u64_e32 vcc, 0, v[2:3]
	s_cbranch_vccnz .LBB0_102
; %bb.101:
	global_load_dword v0, v[0:1], off offset:24
	v_mov_b32_e32 v1, 0
	s_waitcnt vmcnt(0)
	v_readfirstlane_b32 s12, v0
	s_and_b32 m0, s12, 0xffffff
	global_store_dwordx2 v[2:3], v[0:1], off
	s_sendmsg sendmsg(MSG_INTERRUPT)
.LBB0_102:
	s_or_b64 exec, exec, s[10:11]
	s_branch .LBB0_106
.LBB0_103:                              ;   in Loop: Header=BB0_106 Depth=1
	s_or_b64 exec, exec, s[10:11]
	v_readfirstlane_b32 s10, v0
	s_cmp_eq_u32 s10, 0
	s_cbranch_scc1 .LBB0_105
; %bb.104:                              ;   in Loop: Header=BB0_106 Depth=1
	s_sleep 1
	s_cbranch_execnz .LBB0_106
	s_branch .LBB0_108
.LBB0_105:
	s_branch .LBB0_108
.LBB0_106:                              ; =>This Inner Loop Header: Depth=1
	v_mov_b32_e32 v0, 1
	s_and_saveexec_b64 s[10:11], s[4:5]
	s_cbranch_execz .LBB0_103
; %bb.107:                              ;   in Loop: Header=BB0_106 Depth=1
	global_load_dword v0, v[8:9], off offset:20 glc
	s_waitcnt vmcnt(0)
	buffer_wbinvl1_vol
	v_and_b32_e32 v0, 1, v0
	s_branch .LBB0_103
.LBB0_108:
	s_and_saveexec_b64 s[10:11], s[4:5]
	s_cbranch_execz .LBB0_111
; %bb.109:
	v_mov_b32_e32 v6, 0
	global_load_dwordx2 v[0:1], v6, s[6:7] offset:40
	global_load_dwordx2 v[9:10], v6, s[6:7] offset:24 glc
	global_load_dwordx2 v[2:3], v6, s[6:7]
	s_waitcnt vmcnt(2)
	v_readfirstlane_b32 s12, v0
	v_readfirstlane_b32 s13, v1
	s_add_u32 s14, s12, 1
	s_addc_u32 s15, s13, 0
	s_add_u32 s4, s14, s8
	s_addc_u32 s5, s15, s9
	s_cmp_eq_u64 s[4:5], 0
	s_cselect_b32 s5, s15, s5
	s_cselect_b32 s4, s14, s4
	s_and_b64 s[8:9], s[4:5], s[12:13]
	s_mul_i32 s9, s9, 24
	s_mul_hi_u32 s12, s8, 24
	s_mul_i32 s8, s8, 24
	s_add_i32 s9, s12, s9
	v_mov_b32_e32 v0, s9
	s_waitcnt vmcnt(0)
	v_add_co_u32_e32 v4, vcc, s8, v2
	v_addc_co_u32_e32 v5, vcc, v3, v0, vcc
	v_mov_b32_e32 v7, s4
	global_store_dwordx2 v[4:5], v[9:10], off
	v_mov_b32_e32 v8, s5
	s_waitcnt vmcnt(0)
	global_atomic_cmpswap_x2 v[2:3], v6, v[7:10], s[6:7] offset:24 glc
	s_mov_b64 s[8:9], 0
	s_waitcnt vmcnt(0)
	v_cmp_ne_u64_e32 vcc, v[2:3], v[9:10]
	s_and_b64 exec, exec, vcc
	s_cbranch_execz .LBB0_111
.LBB0_110:                              ; =>This Inner Loop Header: Depth=1
	s_sleep 1
	global_store_dwordx2 v[4:5], v[2:3], off
	v_mov_b32_e32 v0, s4
	v_mov_b32_e32 v1, s5
	s_waitcnt vmcnt(0)
	global_atomic_cmpswap_x2 v[0:1], v6, v[0:3], s[6:7] offset:24 glc
	s_waitcnt vmcnt(0)
	v_cmp_eq_u64_e32 vcc, v[0:1], v[2:3]
	v_mov_b32_e32 v3, v1
	s_or_b64 s[8:9], vcc, s[8:9]
	v_mov_b32_e32 v2, v0
	s_andn2_b64 exec, exec, s[8:9]
	s_cbranch_execnz .LBB0_110
.LBB0_111:
	s_or_b64 exec, exec, s[10:11]
	s_waitcnt vmcnt(0) lgkmcnt(0)
	s_setpc_b64 s[30:31]
.LBB0_112:
	s_cbranch_execnz .LBB0_86
.LBB0_113:
	s_waitcnt vmcnt(0) lgkmcnt(0)
	s_setpc_b64 s[30:31]
.Lfunc_end0:
	.size	__ockl_fprintf_append_string_n, .Lfunc_end0-__ockl_fprintf_append_string_n
                                        ; -- End function
	.set .L__ockl_fprintf_append_string_n.num_vgpr, 40
	.set .L__ockl_fprintf_append_string_n.num_agpr, 0
	.set .L__ockl_fprintf_append_string_n.numbered_sgpr, 32
	.set .L__ockl_fprintf_append_string_n.num_named_barrier, 0
	.set .L__ockl_fprintf_append_string_n.private_seg_size, 0
	.set .L__ockl_fprintf_append_string_n.uses_vcc, 1
	.set .L__ockl_fprintf_append_string_n.uses_flat_scratch, 0
	.set .L__ockl_fprintf_append_string_n.has_dyn_sized_stack, 0
	.set .L__ockl_fprintf_append_string_n.has_recursion, 0
	.set .L__ockl_fprintf_append_string_n.has_indirect_call, 0
	.section	.AMDGPU.csdata,"",@progbits
; Function info:
; codeLenInByte = 3900
; TotalNumSgprs: 36
; NumVgprs: 40
; ScratchSize: 0
; MemoryBound: 0
	.text
	.p2align	2                               ; -- Begin function __assert_fail
	.type	__assert_fail,@function
__assert_fail:                          ; @__assert_fail
; %bb.0:
	s_waitcnt vmcnt(0) expcnt(0) lgkmcnt(0)
	s_mov_b32 s25, s33
	s_mov_b32 s33, s32
	s_or_saveexec_b64 s[4:5], -1
	buffer_store_dword v40, off, s[0:3], s33 offset:48 ; 4-byte Folded Spill
	s_mov_b64 exec, s[4:5]
	v_writelane_b32 v40, s30, 0
	s_addk_i32 s32, 0x1000
	v_writelane_b32 v40, s31, 1
	v_mov_b32_e32 v8, 0
	s_getpc_b64 s[4:5]
	s_add_u32 s4, s4, __const.__assert_fail.fmt@rel32@lo+35
	s_addc_u32 s5, s5, __const.__assert_fail.fmt@rel32@hi+43
	v_mov_b32_e32 v5, v1
	v_mov_b32_e32 v4, v0
	global_load_dwordx4 v[0:3], v8, s[4:5]
	s_getpc_b64 s[16:17]
	s_add_u32 s16, s16, __const.__assert_fail.fmt@rel32@lo+4
	s_addc_u32 s17, s17, __const.__assert_fail.fmt@rel32@hi+12
	s_getpc_b64 s[18:19]
	s_add_u32 s18, s18, __const.__assert_fail.fmt@rel32@lo+20
	s_addc_u32 s19, s19, __const.__assert_fail.fmt@rel32@hi+28
	v_mbcnt_lo_u32_b32 v9, -1, 0
	s_load_dwordx4 s[4:7], s[16:17], 0x0
	s_load_dwordx4 s[12:15], s[18:19], 0x0
	s_load_dwordx2 s[10:11], s[8:9], 0x50
	v_mbcnt_hi_u32_b32 v34, -1, v9
	v_mov_b32_e32 v6, 0
	v_readfirstlane_b32 s16, v34
	v_mov_b32_e32 v7, 0
	s_waitcnt lgkmcnt(0)
	v_mov_b32_e32 v9, s7
	v_mov_b32_e32 v11, s5
	;; [unrolled: 1-line block ×3, first 2 shown]
	v_cmp_eq_u32_e64 s[4:5], s16, v34
	v_mov_b32_e32 v10, s6
	v_mov_b32_e32 v13, s15
	;; [unrolled: 1-line block ×5, first 2 shown]
	buffer_store_dword v9, off, s[0:3], s33 offset:12
	buffer_store_dword v10, off, s[0:3], s33 offset:8
	buffer_store_dword v11, off, s[0:3], s33 offset:4
	buffer_store_dword v12, off, s[0:3], s33
	buffer_store_dword v13, off, s[0:3], s33 offset:28
	buffer_store_dword v14, off, s[0:3], s33 offset:24
	;; [unrolled: 1-line block ×4, first 2 shown]
	s_waitcnt vmcnt(8)
	buffer_store_dword v3, off, s[0:3], s33 offset:43
	buffer_store_dword v2, off, s[0:3], s33 offset:39
	;; [unrolled: 1-line block ×4, first 2 shown]
	s_and_saveexec_b64 s[6:7], s[4:5]
	s_cbranch_execz .LBB1_6
; %bb.1:
	global_load_dwordx2 v[2:3], v8, s[10:11] offset:24 glc
	s_waitcnt vmcnt(0)
	buffer_wbinvl1_vol
	global_load_dwordx2 v[0:1], v8, s[10:11] offset:40
	global_load_dwordx2 v[6:7], v8, s[10:11]
	s_waitcnt vmcnt(1)
	v_and_b32_e32 v0, v0, v2
	v_and_b32_e32 v1, v1, v3
	v_mul_lo_u32 v1, v1, 24
	v_mul_hi_u32 v9, v0, 24
	v_mul_lo_u32 v0, v0, 24
	v_add_u32_e32 v1, v9, v1
	s_waitcnt vmcnt(0)
	v_add_co_u32_e32 v0, vcc, v6, v0
	v_addc_co_u32_e32 v1, vcc, v7, v1, vcc
	global_load_dwordx2 v[0:1], v[0:1], off glc
	s_waitcnt vmcnt(0)
	global_atomic_cmpswap_x2 v[6:7], v8, v[0:3], s[10:11] offset:24 glc
	s_waitcnt vmcnt(0)
	buffer_wbinvl1_vol
	v_cmp_ne_u64_e32 vcc, v[6:7], v[2:3]
	s_and_saveexec_b64 s[12:13], vcc
	s_cbranch_execz .LBB1_5
; %bb.2:
	s_mov_b64 s[14:15], 0
	v_mov_b32_e32 v0, 0
.LBB1_3:                                ; =>This Inner Loop Header: Depth=1
	s_sleep 1
	global_load_dwordx2 v[1:2], v0, s[10:11] offset:40
	global_load_dwordx2 v[9:10], v0, s[10:11]
	v_mov_b32_e32 v12, v7
	v_mov_b32_e32 v11, v6
	s_waitcnt vmcnt(1)
	v_and_b32_e32 v1, v1, v11
	s_waitcnt vmcnt(0)
	v_mad_u64_u32 v[6:7], s[16:17], v1, 24, v[9:10]
	v_and_b32_e32 v2, v2, v12
	v_mov_b32_e32 v1, v7
	v_mad_u64_u32 v[1:2], s[16:17], v2, 24, v[1:2]
	v_mov_b32_e32 v7, v1
	global_load_dwordx2 v[9:10], v[6:7], off glc
	s_waitcnt vmcnt(0)
	global_atomic_cmpswap_x2 v[6:7], v0, v[9:12], s[10:11] offset:24 glc
	s_waitcnt vmcnt(0)
	buffer_wbinvl1_vol
	v_cmp_eq_u64_e32 vcc, v[6:7], v[11:12]
	s_or_b64 s[14:15], vcc, s[14:15]
	s_andn2_b64 exec, exec, s[14:15]
	s_cbranch_execnz .LBB1_3
; %bb.4:
	s_or_b64 exec, exec, s[14:15]
.LBB1_5:
	s_or_b64 exec, exec, s[12:13]
.LBB1_6:
	s_or_b64 exec, exec, s[6:7]
	global_load_dwordx2 v[9:10], v8, s[10:11] offset:40
	global_load_dwordx4 v[0:3], v8, s[10:11]
	v_readfirstlane_b32 s7, v7
	v_readfirstlane_b32 s6, v6
	s_mov_b64 s[12:13], exec
	s_waitcnt vmcnt(1)
	v_readfirstlane_b32 s14, v9
	v_readfirstlane_b32 s15, v10
	s_and_b64 s[14:15], s[14:15], s[6:7]
	s_mul_i32 s16, s15, 24
	s_mul_hi_u32 s17, s14, 24
	s_mul_i32 s18, s14, 24
	s_add_i32 s16, s17, s16
	v_mov_b32_e32 v6, s16
	s_waitcnt vmcnt(0)
	v_add_co_u32_e32 v10, vcc, s18, v0
	v_addc_co_u32_e32 v11, vcc, v1, v6, vcc
	s_and_saveexec_b64 s[16:17], s[4:5]
	s_cbranch_execz .LBB1_8
; %bb.7:
	v_mov_b32_e32 v6, s12
	v_mov_b32_e32 v7, s13
	;; [unrolled: 1-line block ×4, first 2 shown]
	global_store_dwordx4 v[10:11], v[6:9], off offset:8
.LBB1_8:
	s_or_b64 exec, exec, s[16:17]
	s_lshl_b64 s[12:13], s[14:15], 12
	v_mov_b32_e32 v6, s13
	v_add_co_u32_e32 v2, vcc, s12, v2
	s_mov_b32 s12, 0
	v_addc_co_u32_e32 v3, vcc, v3, v6, vcc
	v_lshlrev_b32_e32 v35, 6, v34
	s_mov_b32 s15, s12
	v_mov_b32_e32 v7, 0
	v_add_co_u32_e32 v12, vcc, v2, v35
	s_mov_b32 s13, s12
	s_mov_b32 s14, s12
	v_mov_b32_e32 v17, s15
	v_addc_co_u32_e32 v13, vcc, 0, v3, vcc
	v_mov_b32_e32 v6, 33
	v_mov_b32_e32 v8, 1
	;; [unrolled: 1-line block ×3, first 2 shown]
	v_readfirstlane_b32 s16, v2
	v_readfirstlane_b32 s17, v3
	v_mov_b32_e32 v16, s14
	v_mov_b32_e32 v15, s13
	;; [unrolled: 1-line block ×3, first 2 shown]
	s_nop 1
	global_store_dwordx4 v35, v[6:9], s[16:17]
	global_store_dwordx4 v35, v[14:17], s[16:17] offset:16
	global_store_dwordx4 v35, v[14:17], s[16:17] offset:32
	;; [unrolled: 1-line block ×3, first 2 shown]
	s_and_saveexec_b64 s[12:13], s[4:5]
	s_cbranch_execz .LBB1_16
; %bb.9:
	global_load_dwordx2 v[16:17], v7, s[10:11] offset:32 glc
	global_load_dwordx2 v[2:3], v7, s[10:11] offset:40
	v_mov_b32_e32 v14, s6
	v_mov_b32_e32 v15, s7
	s_waitcnt vmcnt(0)
	v_and_b32_e32 v2, s6, v2
	v_and_b32_e32 v3, s7, v3
	v_mul_lo_u32 v3, v3, 24
	v_mul_hi_u32 v6, v2, 24
	v_mul_lo_u32 v2, v2, 24
	v_add_u32_e32 v3, v6, v3
	v_add_co_u32_e32 v8, vcc, v0, v2
	v_addc_co_u32_e32 v9, vcc, v1, v3, vcc
	global_store_dwordx2 v[8:9], v[16:17], off
	s_waitcnt vmcnt(0)
	global_atomic_cmpswap_x2 v[2:3], v7, v[14:17], s[10:11] offset:32 glc
	s_waitcnt vmcnt(0)
	v_cmp_ne_u64_e32 vcc, v[2:3], v[16:17]
	s_and_saveexec_b64 s[14:15], vcc
	s_cbranch_execz .LBB1_12
; %bb.10:
	s_mov_b64 s[16:17], 0
	v_mov_b32_e32 v6, 0
.LBB1_11:                               ; =>This Inner Loop Header: Depth=1
	s_sleep 1
	global_store_dwordx2 v[8:9], v[2:3], off
	v_mov_b32_e32 v0, s6
	v_mov_b32_e32 v1, s7
	s_waitcnt vmcnt(0)
	global_atomic_cmpswap_x2 v[0:1], v6, v[0:3], s[10:11] offset:32 glc
	s_waitcnt vmcnt(0)
	v_cmp_eq_u64_e32 vcc, v[0:1], v[2:3]
	v_mov_b32_e32 v3, v1
	s_or_b64 s[16:17], vcc, s[16:17]
	v_mov_b32_e32 v2, v0
	s_andn2_b64 exec, exec, s[16:17]
	s_cbranch_execnz .LBB1_11
.LBB1_12:
	s_or_b64 exec, exec, s[14:15]
	v_mov_b32_e32 v3, 0
	global_load_dwordx2 v[0:1], v3, s[10:11] offset:16
	s_mov_b64 s[14:15], exec
	v_mbcnt_lo_u32_b32 v2, s14, 0
	v_mbcnt_hi_u32_b32 v2, s15, v2
	v_cmp_eq_u32_e32 vcc, 0, v2
	s_and_saveexec_b64 s[16:17], vcc
	s_cbranch_execz .LBB1_14
; %bb.13:
	s_bcnt1_i32_b64 s14, s[14:15]
	v_mov_b32_e32 v2, s14
	s_waitcnt vmcnt(0)
	global_atomic_add_x2 v[0:1], v[2:3], off offset:8
.LBB1_14:
	s_or_b64 exec, exec, s[16:17]
	s_waitcnt vmcnt(0)
	global_load_dwordx2 v[2:3], v[0:1], off offset:16
	s_waitcnt vmcnt(0)
	v_cmp_eq_u64_e32 vcc, 0, v[2:3]
	s_cbranch_vccnz .LBB1_16
; %bb.15:
	global_load_dword v0, v[0:1], off offset:24
	v_mov_b32_e32 v1, 0
	s_waitcnt vmcnt(0)
	v_readfirstlane_b32 s14, v0
	s_and_b32 m0, s14, 0xffffff
	global_store_dwordx2 v[2:3], v[0:1], off
	s_sendmsg sendmsg(MSG_INTERRUPT)
.LBB1_16:
	s_or_b64 exec, exec, s[12:13]
	s_branch .LBB1_20
.LBB1_17:                               ;   in Loop: Header=BB1_20 Depth=1
	s_or_b64 exec, exec, s[12:13]
	v_readfirstlane_b32 s12, v0
	s_cmp_eq_u32 s12, 0
	s_cbranch_scc1 .LBB1_19
; %bb.18:                               ;   in Loop: Header=BB1_20 Depth=1
	s_sleep 1
	s_cbranch_execnz .LBB1_20
	s_branch .LBB1_22
.LBB1_19:
	s_branch .LBB1_22
.LBB1_20:                               ; =>This Inner Loop Header: Depth=1
	v_mov_b32_e32 v0, 1
	s_and_saveexec_b64 s[12:13], s[4:5]
	s_cbranch_execz .LBB1_17
; %bb.21:                               ;   in Loop: Header=BB1_20 Depth=1
	global_load_dword v0, v[10:11], off offset:20 glc
	s_waitcnt vmcnt(0)
	buffer_wbinvl1_vol
	v_and_b32_e32 v0, 1, v0
	s_branch .LBB1_17
.LBB1_22:
	global_load_dwordx2 v[6:7], v[12:13], off
	s_and_saveexec_b64 s[12:13], s[4:5]
	s_cbranch_execz .LBB1_25
; %bb.23:
	v_mov_b32_e32 v10, 0
	global_load_dwordx2 v[0:1], v10, s[10:11] offset:40
	global_load_dwordx2 v[13:14], v10, s[10:11] offset:24 glc
	global_load_dwordx2 v[2:3], v10, s[10:11]
	s_waitcnt vmcnt(2)
	v_readfirstlane_b32 s14, v0
	v_readfirstlane_b32 s15, v1
	s_add_u32 s16, s14, 1
	s_addc_u32 s17, s15, 0
	s_add_u32 s4, s16, s6
	s_addc_u32 s5, s17, s7
	s_cmp_eq_u64 s[4:5], 0
	s_cselect_b32 s5, s17, s5
	s_cselect_b32 s4, s16, s4
	s_and_b64 s[6:7], s[4:5], s[14:15]
	s_mul_i32 s7, s7, 24
	s_mul_hi_u32 s14, s6, 24
	s_mul_i32 s6, s6, 24
	s_add_i32 s7, s14, s7
	v_mov_b32_e32 v0, s7
	s_waitcnt vmcnt(0)
	v_add_co_u32_e32 v8, vcc, s6, v2
	v_addc_co_u32_e32 v9, vcc, v3, v0, vcc
	v_mov_b32_e32 v11, s4
	global_store_dwordx2 v[8:9], v[13:14], off
	v_mov_b32_e32 v12, s5
	s_waitcnt vmcnt(0)
	global_atomic_cmpswap_x2 v[2:3], v10, v[11:14], s[10:11] offset:24 glc
	s_mov_b64 s[6:7], 0
	s_waitcnt vmcnt(0)
	v_cmp_ne_u64_e32 vcc, v[2:3], v[13:14]
	s_and_b64 exec, exec, vcc
	s_cbranch_execz .LBB1_25
.LBB1_24:                               ; =>This Inner Loop Header: Depth=1
	s_sleep 1
	global_store_dwordx2 v[8:9], v[2:3], off
	v_mov_b32_e32 v0, s4
	v_mov_b32_e32 v1, s5
	s_waitcnt vmcnt(0)
	global_atomic_cmpswap_x2 v[0:1], v10, v[0:3], s[10:11] offset:24 glc
	s_waitcnt vmcnt(0)
	v_cmp_eq_u64_e32 vcc, v[0:1], v[2:3]
	v_mov_b32_e32 v3, v1
	s_or_b64 s[6:7], vcc, s[6:7]
	v_mov_b32_e32 v2, v0
	s_andn2_b64 exec, exec, s[6:7]
	s_cbranch_execnz .LBB1_24
.LBB1_25:
	s_or_b64 exec, exec, s[12:13]
	s_lshr_b32 s6, s33, 6
	s_mov_b64 s[4:5], 0
.LBB1_26:                               ; =>This Inner Loop Header: Depth=1
	v_mov_b32_e32 v0, s6
	buffer_load_ubyte v1, v0, s[0:3], 0 offen
	s_add_i32 s6, s6, 1
	v_mov_b32_e32 v0, s6
	s_waitcnt vmcnt(0)
	v_cmp_eq_u16_e32 vcc, 0, v1
	s_or_b64 s[4:5], vcc, s[4:5]
	s_andn2_b64 exec, exec, s[4:5]
	s_cbranch_execnz .LBB1_26
; %bb.27:
	s_or_b64 exec, exec, s[4:5]
	s_lshr_b32 s4, s33, 6
	s_cmp_lg_u32 s4, -1
	s_cbranch_scc0 .LBB1_112
; %bb.28:
	v_lshrrev_b32_e64 v1, 6, s33
	v_subrev_u32_e32 v28, v1, v0
	v_ashrrev_i32_e32 v29, 31, v28
	v_and_b32_e32 v36, 2, v6
	v_mov_b32_e32 v31, 0
	v_and_b32_e32 v0, -3, v6
	v_mov_b32_e32 v1, v7
	s_mov_b64 s[12:13], 0
	v_lshrrev_b32_e64 v37, 6, s33
	s_mov_b32 s20, 0
	s_movk_i32 s21, 0x1e0
	v_mov_b32_e32 v10, 2
	v_mov_b32_e32 v11, 1
	s_branch .LBB1_30
.LBB1_29:                               ;   in Loop: Header=BB1_30 Depth=1
	s_or_b64 exec, exec, s[6:7]
	v_sub_co_u32_e32 v28, vcc, v28, v38
	v_subb_co_u32_e32 v29, vcc, v29, v39, vcc
	v_cmp_eq_u64_e32 vcc, 0, v[28:29]
	v_add_u32_e32 v37, v37, v38
	s_or_b64 s[12:13], vcc, s[12:13]
	s_andn2_b64 exec, exec, s[12:13]
	s_cbranch_execz .LBB1_113
.LBB1_30:                               ; =>This Loop Header: Depth=1
                                        ;     Child Loop BB1_33 Depth 2
                                        ;     Child Loop BB1_41 Depth 2
	;; [unrolled: 1-line block ×11, first 2 shown]
	v_cmp_gt_u64_e32 vcc, 56, v[28:29]
	v_cmp_gt_u64_e64 s[4:5], 8, v[28:29]
	v_cndmask_b32_e32 v38, 56, v28, vcc
	v_add_u32_e32 v9, 8, v37
	s_and_saveexec_b64 s[6:7], s[4:5]
	s_xor_b64 s[6:7], exec, s[6:7]
	s_cbranch_execz .LBB1_36
; %bb.31:                               ;   in Loop: Header=BB1_30 Depth=1
	v_mov_b32_e32 v2, 0
	v_cmp_ne_u64_e64 s[4:5], 0, v[28:29]
	v_mov_b32_e32 v3, 0
	s_and_saveexec_b64 s[14:15], s[4:5]
	s_cbranch_execz .LBB1_35
; %bb.32:                               ;   in Loop: Header=BB1_30 Depth=1
	v_mov_b32_e32 v2, 0
	s_mov_b32 s22, 0
	s_mov_b64 s[16:17], 0
	v_mov_b32_e32 v3, 0
	s_mov_b64 s[18:19], 0
.LBB1_33:                               ;   Parent Loop BB1_30 Depth=1
                                        ; =>  This Inner Loop Header: Depth=2
	v_add_u32_e32 v8, s22, v37
	buffer_load_ubyte v8, v8, s[0:3], 0 offen
	v_mov_b32_e32 v9, s20
	s_add_i32 s22, s22, 1
	v_cmp_eq_u32_e64 s[4:5], s22, v38
	s_waitcnt vmcnt(0)
	v_and_b32_e32 v8, 0xffff, v8
	v_lshlrev_b64 v[8:9], s18, v[8:9]
	s_add_u32 s18, s18, 8
	s_addc_u32 s19, s19, 0
	v_or_b32_e32 v3, v9, v3
	s_or_b64 s[16:17], s[4:5], s[16:17]
	v_or_b32_e32 v2, v8, v2
	s_andn2_b64 exec, exec, s[16:17]
	s_cbranch_execnz .LBB1_33
; %bb.34:                               ;   in Loop: Header=BB1_30 Depth=1
	s_or_b64 exec, exec, s[16:17]
.LBB1_35:                               ;   in Loop: Header=BB1_30 Depth=1
	s_or_b64 exec, exec, s[14:15]
	v_mov_b32_e32 v9, v37
.LBB1_36:                               ;   in Loop: Header=BB1_30 Depth=1
	s_or_saveexec_b64 s[4:5], s[6:7]
	v_mov_b32_e32 v14, 0
	s_xor_b64 exec, exec, s[4:5]
	s_cbranch_execz .LBB1_38
; %bb.37:                               ;   in Loop: Header=BB1_30 Depth=1
	buffer_load_dword v2, v37, s[0:3], 0 offen
	buffer_load_dword v3, v37, s[0:3], 0 offen offset:4
	v_add_u32_e32 v14, -8, v38
.LBB1_38:                               ;   in Loop: Header=BB1_30 Depth=1
	s_or_b64 exec, exec, s[4:5]
	v_cmp_gt_u32_e64 s[4:5], 8, v14
	v_add_u32_e32 v8, 8, v9
                                        ; implicit-def: $vgpr12_vgpr13
	s_and_saveexec_b64 s[6:7], s[4:5]
	s_xor_b64 s[6:7], exec, s[6:7]
	s_cbranch_execz .LBB1_44
; %bb.39:                               ;   in Loop: Header=BB1_30 Depth=1
	v_mov_b32_e32 v12, 0
	v_mov_b32_e32 v13, 0
	v_cmp_ne_u32_e64 s[4:5], 0, v14
	s_and_saveexec_b64 s[14:15], s[4:5]
	s_cbranch_execz .LBB1_43
; %bb.40:                               ;   in Loop: Header=BB1_30 Depth=1
	v_mov_b32_e32 v12, 0
	s_mov_b32 s22, 0
	s_mov_b64 s[16:17], 0
	v_mov_b32_e32 v13, 0
	s_mov_b64 s[18:19], 0
.LBB1_41:                               ;   Parent Loop BB1_30 Depth=1
                                        ; =>  This Inner Loop Header: Depth=2
	v_add_u32_e32 v8, s22, v9
	buffer_load_ubyte v8, v8, s[0:3], 0 offen
	v_mov_b32_e32 v16, s20
	s_add_i32 s22, s22, 1
	v_cmp_eq_u32_e64 s[4:5], s22, v14
	s_waitcnt vmcnt(0)
	v_and_b32_e32 v15, 0xffff, v8
	v_lshlrev_b64 v[15:16], s18, v[15:16]
	s_add_u32 s18, s18, 8
	s_addc_u32 s19, s19, 0
	v_or_b32_e32 v13, v16, v13
	s_or_b64 s[16:17], s[4:5], s[16:17]
	v_or_b32_e32 v12, v15, v12
	s_andn2_b64 exec, exec, s[16:17]
	s_cbranch_execnz .LBB1_41
; %bb.42:                               ;   in Loop: Header=BB1_30 Depth=1
	s_or_b64 exec, exec, s[16:17]
.LBB1_43:                               ;   in Loop: Header=BB1_30 Depth=1
	s_or_b64 exec, exec, s[14:15]
	v_mov_b32_e32 v8, v9
                                        ; implicit-def: $vgpr14
.LBB1_44:                               ;   in Loop: Header=BB1_30 Depth=1
	s_or_saveexec_b64 s[4:5], s[6:7]
	v_mov_b32_e32 v16, 0
	s_xor_b64 exec, exec, s[4:5]
	s_cbranch_execz .LBB1_46
; %bb.45:                               ;   in Loop: Header=BB1_30 Depth=1
	buffer_load_dword v12, v9, s[0:3], 0 offen
	buffer_load_dword v13, v9, s[0:3], 0 offen offset:4
	v_add_u32_e32 v16, -8, v14
.LBB1_46:                               ;   in Loop: Header=BB1_30 Depth=1
	s_or_b64 exec, exec, s[4:5]
	v_cmp_gt_u32_e64 s[4:5], 8, v16
	v_add_u32_e32 v9, 8, v8
	s_and_saveexec_b64 s[6:7], s[4:5]
	s_xor_b64 s[6:7], exec, s[6:7]
	s_cbranch_execz .LBB1_52
; %bb.47:                               ;   in Loop: Header=BB1_30 Depth=1
	v_mov_b32_e32 v14, 0
	v_mov_b32_e32 v15, 0
	v_cmp_ne_u32_e64 s[4:5], 0, v16
	s_and_saveexec_b64 s[14:15], s[4:5]
	s_cbranch_execz .LBB1_51
; %bb.48:                               ;   in Loop: Header=BB1_30 Depth=1
	v_mov_b32_e32 v14, 0
	s_mov_b32 s22, 0
	s_mov_b64 s[16:17], 0
	v_mov_b32_e32 v15, 0
	s_mov_b64 s[18:19], 0
.LBB1_49:                               ;   Parent Loop BB1_30 Depth=1
                                        ; =>  This Inner Loop Header: Depth=2
	v_add_u32_e32 v9, s22, v8
	buffer_load_ubyte v9, v9, s[0:3], 0 offen
	v_mov_b32_e32 v18, s20
	s_add_i32 s22, s22, 1
	v_cmp_eq_u32_e64 s[4:5], s22, v16
	s_waitcnt vmcnt(0)
	v_and_b32_e32 v17, 0xffff, v9
	v_lshlrev_b64 v[17:18], s18, v[17:18]
	s_add_u32 s18, s18, 8
	s_addc_u32 s19, s19, 0
	v_or_b32_e32 v15, v18, v15
	s_or_b64 s[16:17], s[4:5], s[16:17]
	v_or_b32_e32 v14, v17, v14
	s_andn2_b64 exec, exec, s[16:17]
	s_cbranch_execnz .LBB1_49
; %bb.50:                               ;   in Loop: Header=BB1_30 Depth=1
	s_or_b64 exec, exec, s[16:17]
.LBB1_51:                               ;   in Loop: Header=BB1_30 Depth=1
	s_or_b64 exec, exec, s[14:15]
	v_mov_b32_e32 v9, v8
                                        ; implicit-def: $vgpr16
.LBB1_52:                               ;   in Loop: Header=BB1_30 Depth=1
	s_or_saveexec_b64 s[4:5], s[6:7]
	v_mov_b32_e32 v18, 0
	s_xor_b64 exec, exec, s[4:5]
	s_cbranch_execz .LBB1_54
; %bb.53:                               ;   in Loop: Header=BB1_30 Depth=1
	buffer_load_dword v14, v8, s[0:3], 0 offen
	buffer_load_dword v15, v8, s[0:3], 0 offen offset:4
	v_add_u32_e32 v18, -8, v16
.LBB1_54:                               ;   in Loop: Header=BB1_30 Depth=1
	s_or_b64 exec, exec, s[4:5]
	v_cmp_gt_u32_e64 s[4:5], 8, v18
	v_add_u32_e32 v8, 8, v9
                                        ; implicit-def: $vgpr16_vgpr17
	s_and_saveexec_b64 s[6:7], s[4:5]
	s_xor_b64 s[6:7], exec, s[6:7]
	s_cbranch_execz .LBB1_60
; %bb.55:                               ;   in Loop: Header=BB1_30 Depth=1
	v_mov_b32_e32 v16, 0
	v_mov_b32_e32 v17, 0
	v_cmp_ne_u32_e64 s[4:5], 0, v18
	s_and_saveexec_b64 s[14:15], s[4:5]
	s_cbranch_execz .LBB1_59
; %bb.56:                               ;   in Loop: Header=BB1_30 Depth=1
	v_mov_b32_e32 v16, 0
	s_mov_b32 s22, 0
	s_mov_b64 s[16:17], 0
	v_mov_b32_e32 v17, 0
	s_mov_b64 s[18:19], 0
.LBB1_57:                               ;   Parent Loop BB1_30 Depth=1
                                        ; =>  This Inner Loop Header: Depth=2
	v_add_u32_e32 v8, s22, v9
	buffer_load_ubyte v8, v8, s[0:3], 0 offen
	v_mov_b32_e32 v20, s20
	s_add_i32 s22, s22, 1
	v_cmp_eq_u32_e64 s[4:5], s22, v18
	s_waitcnt vmcnt(0)
	v_and_b32_e32 v19, 0xffff, v8
	v_lshlrev_b64 v[19:20], s18, v[19:20]
	s_add_u32 s18, s18, 8
	s_addc_u32 s19, s19, 0
	v_or_b32_e32 v17, v20, v17
	s_or_b64 s[16:17], s[4:5], s[16:17]
	v_or_b32_e32 v16, v19, v16
	s_andn2_b64 exec, exec, s[16:17]
	s_cbranch_execnz .LBB1_57
; %bb.58:                               ;   in Loop: Header=BB1_30 Depth=1
	s_or_b64 exec, exec, s[16:17]
.LBB1_59:                               ;   in Loop: Header=BB1_30 Depth=1
	s_or_b64 exec, exec, s[14:15]
	v_mov_b32_e32 v8, v9
                                        ; implicit-def: $vgpr18
.LBB1_60:                               ;   in Loop: Header=BB1_30 Depth=1
	s_or_saveexec_b64 s[4:5], s[6:7]
	v_mov_b32_e32 v20, 0
	s_xor_b64 exec, exec, s[4:5]
	s_cbranch_execz .LBB1_62
; %bb.61:                               ;   in Loop: Header=BB1_30 Depth=1
	buffer_load_dword v16, v9, s[0:3], 0 offen
	buffer_load_dword v17, v9, s[0:3], 0 offen offset:4
	v_add_u32_e32 v20, -8, v18
.LBB1_62:                               ;   in Loop: Header=BB1_30 Depth=1
	s_or_b64 exec, exec, s[4:5]
	v_cmp_gt_u32_e64 s[4:5], 8, v20
	v_add_u32_e32 v9, 8, v8
	s_and_saveexec_b64 s[6:7], s[4:5]
	s_xor_b64 s[6:7], exec, s[6:7]
	s_cbranch_execz .LBB1_68
; %bb.63:                               ;   in Loop: Header=BB1_30 Depth=1
	v_mov_b32_e32 v18, 0
	v_mov_b32_e32 v19, 0
	v_cmp_ne_u32_e64 s[4:5], 0, v20
	s_and_saveexec_b64 s[14:15], s[4:5]
	s_cbranch_execz .LBB1_67
; %bb.64:                               ;   in Loop: Header=BB1_30 Depth=1
	v_mov_b32_e32 v18, 0
	s_mov_b32 s22, 0
	s_mov_b64 s[16:17], 0
	v_mov_b32_e32 v19, 0
	s_mov_b64 s[18:19], 0
.LBB1_65:                               ;   Parent Loop BB1_30 Depth=1
                                        ; =>  This Inner Loop Header: Depth=2
	v_add_u32_e32 v9, s22, v8
	buffer_load_ubyte v9, v9, s[0:3], 0 offen
	v_mov_b32_e32 v22, s20
	s_add_i32 s22, s22, 1
	v_cmp_eq_u32_e64 s[4:5], s22, v20
	s_waitcnt vmcnt(0)
	v_and_b32_e32 v21, 0xffff, v9
	v_lshlrev_b64 v[21:22], s18, v[21:22]
	s_add_u32 s18, s18, 8
	s_addc_u32 s19, s19, 0
	v_or_b32_e32 v19, v22, v19
	s_or_b64 s[16:17], s[4:5], s[16:17]
	v_or_b32_e32 v18, v21, v18
	s_andn2_b64 exec, exec, s[16:17]
	s_cbranch_execnz .LBB1_65
; %bb.66:                               ;   in Loop: Header=BB1_30 Depth=1
	s_or_b64 exec, exec, s[16:17]
.LBB1_67:                               ;   in Loop: Header=BB1_30 Depth=1
	s_or_b64 exec, exec, s[14:15]
	v_mov_b32_e32 v9, v8
                                        ; implicit-def: $vgpr20
.LBB1_68:                               ;   in Loop: Header=BB1_30 Depth=1
	s_or_saveexec_b64 s[4:5], s[6:7]
	v_mov_b32_e32 v22, 0
	s_xor_b64 exec, exec, s[4:5]
	s_cbranch_execz .LBB1_70
; %bb.69:                               ;   in Loop: Header=BB1_30 Depth=1
	buffer_load_dword v18, v8, s[0:3], 0 offen
	buffer_load_dword v19, v8, s[0:3], 0 offen offset:4
	v_add_u32_e32 v22, -8, v20
.LBB1_70:                               ;   in Loop: Header=BB1_30 Depth=1
	s_or_b64 exec, exec, s[4:5]
	v_cmp_gt_u32_e64 s[4:5], 8, v22
	v_add_u32_e32 v8, 8, v9
                                        ; implicit-def: $vgpr20_vgpr21
	s_and_saveexec_b64 s[6:7], s[4:5]
	s_xor_b64 s[6:7], exec, s[6:7]
	s_cbranch_execz .LBB1_76
; %bb.71:                               ;   in Loop: Header=BB1_30 Depth=1
	v_mov_b32_e32 v20, 0
	v_mov_b32_e32 v21, 0
	v_cmp_ne_u32_e64 s[4:5], 0, v22
	s_and_saveexec_b64 s[14:15], s[4:5]
	s_cbranch_execz .LBB1_75
; %bb.72:                               ;   in Loop: Header=BB1_30 Depth=1
	v_mov_b32_e32 v20, 0
	s_mov_b32 s22, 0
	s_mov_b64 s[16:17], 0
	v_mov_b32_e32 v21, 0
	s_mov_b64 s[18:19], 0
.LBB1_73:                               ;   Parent Loop BB1_30 Depth=1
                                        ; =>  This Inner Loop Header: Depth=2
	v_add_u32_e32 v8, s22, v9
	buffer_load_ubyte v8, v8, s[0:3], 0 offen
	v_mov_b32_e32 v24, s20
	s_add_i32 s22, s22, 1
	v_cmp_eq_u32_e64 s[4:5], s22, v22
	s_waitcnt vmcnt(0)
	v_and_b32_e32 v23, 0xffff, v8
	v_lshlrev_b64 v[23:24], s18, v[23:24]
	s_add_u32 s18, s18, 8
	s_addc_u32 s19, s19, 0
	v_or_b32_e32 v21, v24, v21
	s_or_b64 s[16:17], s[4:5], s[16:17]
	v_or_b32_e32 v20, v23, v20
	s_andn2_b64 exec, exec, s[16:17]
	s_cbranch_execnz .LBB1_73
; %bb.74:                               ;   in Loop: Header=BB1_30 Depth=1
	s_or_b64 exec, exec, s[16:17]
.LBB1_75:                               ;   in Loop: Header=BB1_30 Depth=1
	s_or_b64 exec, exec, s[14:15]
	v_mov_b32_e32 v8, v9
                                        ; implicit-def: $vgpr22
.LBB1_76:                               ;   in Loop: Header=BB1_30 Depth=1
	s_or_saveexec_b64 s[4:5], s[6:7]
	v_mov_b32_e32 v24, 0
	s_xor_b64 exec, exec, s[4:5]
	s_cbranch_execz .LBB1_78
; %bb.77:                               ;   in Loop: Header=BB1_30 Depth=1
	buffer_load_dword v20, v9, s[0:3], 0 offen
	buffer_load_dword v21, v9, s[0:3], 0 offen offset:4
	v_add_u32_e32 v24, -8, v22
.LBB1_78:                               ;   in Loop: Header=BB1_30 Depth=1
	s_or_b64 exec, exec, s[4:5]
	v_cmp_gt_u32_e64 s[4:5], 8, v24
	s_and_saveexec_b64 s[6:7], s[4:5]
	s_xor_b64 s[6:7], exec, s[6:7]
	s_cbranch_execz .LBB1_84
; %bb.79:                               ;   in Loop: Header=BB1_30 Depth=1
	v_mov_b32_e32 v22, 0
	v_mov_b32_e32 v23, 0
	v_cmp_ne_u32_e64 s[4:5], 0, v24
	s_and_saveexec_b64 s[14:15], s[4:5]
	s_cbranch_execz .LBB1_83
; %bb.80:                               ;   in Loop: Header=BB1_30 Depth=1
	v_mov_b32_e32 v22, 0
	s_mov_b64 s[16:17], 0
	v_mov_b32_e32 v23, 0
	s_mov_b64 s[18:19], 0
.LBB1_81:                               ;   Parent Loop BB1_30 Depth=1
                                        ; =>  This Inner Loop Header: Depth=2
	buffer_load_ubyte v9, v8, s[0:3], 0 offen
	v_mov_b32_e32 v26, s20
	v_add_u32_e32 v24, -1, v24
	v_cmp_eq_u32_e64 s[4:5], 0, v24
	v_add_u32_e32 v8, 1, v8
	s_waitcnt vmcnt(0)
	v_and_b32_e32 v25, 0xffff, v9
	v_lshlrev_b64 v[25:26], s18, v[25:26]
	s_add_u32 s18, s18, 8
	s_addc_u32 s19, s19, 0
	v_or_b32_e32 v23, v26, v23
	s_or_b64 s[16:17], s[4:5], s[16:17]
	v_or_b32_e32 v22, v25, v22
	s_andn2_b64 exec, exec, s[16:17]
	s_cbranch_execnz .LBB1_81
; %bb.82:                               ;   in Loop: Header=BB1_30 Depth=1
	s_or_b64 exec, exec, s[16:17]
.LBB1_83:                               ;   in Loop: Header=BB1_30 Depth=1
	s_or_b64 exec, exec, s[14:15]
                                        ; implicit-def: $vgpr8
.LBB1_84:                               ;   in Loop: Header=BB1_30 Depth=1
	s_andn2_saveexec_b64 s[4:5], s[6:7]
	s_cbranch_execz .LBB1_86
; %bb.85:                               ;   in Loop: Header=BB1_30 Depth=1
	buffer_load_dword v22, v8, s[0:3], 0 offen
	buffer_load_dword v23, v8, s[0:3], 0 offen offset:4
.LBB1_86:                               ;   in Loop: Header=BB1_30 Depth=1
	s_or_b64 exec, exec, s[4:5]
	v_readfirstlane_b32 s4, v34
	v_mov_b32_e32 v8, 0
	v_mov_b32_e32 v9, 0
	v_cmp_eq_u32_e64 s[4:5], s4, v34
	s_and_saveexec_b64 s[14:15], s[4:5]
	s_cbranch_execz .LBB1_92
; %bb.87:                               ;   in Loop: Header=BB1_30 Depth=1
	global_load_dwordx2 v[26:27], v31, s[10:11] offset:24 glc
	s_waitcnt vmcnt(0)
	buffer_wbinvl1_vol
	global_load_dwordx2 v[8:9], v31, s[10:11] offset:40
	global_load_dwordx2 v[24:25], v31, s[10:11]
	s_waitcnt vmcnt(1)
	v_and_b32_e32 v8, v8, v26
	v_and_b32_e32 v9, v9, v27
	v_mul_lo_u32 v9, v9, 24
	v_mul_hi_u32 v30, v8, 24
	v_mul_lo_u32 v8, v8, 24
	v_add_u32_e32 v9, v30, v9
	s_waitcnt vmcnt(0)
	v_add_co_u32_e64 v8, s[6:7], v24, v8
	v_addc_co_u32_e64 v9, s[6:7], v25, v9, s[6:7]
	global_load_dwordx2 v[24:25], v[8:9], off glc
	s_waitcnt vmcnt(0)
	global_atomic_cmpswap_x2 v[8:9], v31, v[24:27], s[10:11] offset:24 glc
	s_waitcnt vmcnt(0)
	buffer_wbinvl1_vol
	v_cmp_ne_u64_e64 s[6:7], v[8:9], v[26:27]
	s_and_saveexec_b64 s[16:17], s[6:7]
	s_cbranch_execz .LBB1_91
; %bb.88:                               ;   in Loop: Header=BB1_30 Depth=1
	s_mov_b64 s[18:19], 0
.LBB1_89:                               ;   Parent Loop BB1_30 Depth=1
                                        ; =>  This Inner Loop Header: Depth=2
	s_sleep 1
	global_load_dwordx2 v[24:25], v31, s[10:11] offset:40
	global_load_dwordx2 v[32:33], v31, s[10:11]
	v_mov_b32_e32 v27, v9
	v_mov_b32_e32 v26, v8
	s_waitcnt vmcnt(1)
	v_and_b32_e32 v8, v24, v26
	s_waitcnt vmcnt(0)
	v_mad_u64_u32 v[8:9], s[6:7], v8, 24, v[32:33]
	v_and_b32_e32 v24, v25, v27
	v_mad_u64_u32 v[24:25], s[6:7], v24, 24, v[9:10]
	v_mov_b32_e32 v9, v24
	global_load_dwordx2 v[24:25], v[8:9], off glc
	s_waitcnt vmcnt(0)
	global_atomic_cmpswap_x2 v[8:9], v31, v[24:27], s[10:11] offset:24 glc
	s_waitcnt vmcnt(0)
	buffer_wbinvl1_vol
	v_cmp_eq_u64_e64 s[6:7], v[8:9], v[26:27]
	s_or_b64 s[18:19], s[6:7], s[18:19]
	s_andn2_b64 exec, exec, s[18:19]
	s_cbranch_execnz .LBB1_89
; %bb.90:                               ;   in Loop: Header=BB1_30 Depth=1
	s_or_b64 exec, exec, s[18:19]
.LBB1_91:                               ;   in Loop: Header=BB1_30 Depth=1
	s_or_b64 exec, exec, s[16:17]
.LBB1_92:                               ;   in Loop: Header=BB1_30 Depth=1
	s_or_b64 exec, exec, s[14:15]
	global_load_dwordx2 v[32:33], v31, s[10:11] offset:40
	global_load_dwordx4 v[24:27], v31, s[10:11]
	v_readfirstlane_b32 s15, v9
	v_readfirstlane_b32 s14, v8
	s_mov_b64 s[16:17], exec
	s_waitcnt vmcnt(1)
	v_readfirstlane_b32 s6, v32
	v_readfirstlane_b32 s7, v33
	s_and_b64 s[18:19], s[6:7], s[14:15]
	s_mul_i32 s6, s19, 24
	s_mul_hi_u32 s7, s18, 24
	s_mul_i32 s22, s18, 24
	s_add_i32 s6, s7, s6
	v_mov_b32_e32 v8, s6
	s_waitcnt vmcnt(0)
	v_add_co_u32_e64 v32, s[6:7], s22, v24
	v_addc_co_u32_e64 v33, s[6:7], v25, v8, s[6:7]
	s_and_saveexec_b64 s[6:7], s[4:5]
	s_cbranch_execz .LBB1_94
; %bb.93:                               ;   in Loop: Header=BB1_30 Depth=1
	v_mov_b32_e32 v8, s16
	v_mov_b32_e32 v9, s17
	global_store_dwordx4 v[32:33], v[8:11], off offset:8
.LBB1_94:                               ;   in Loop: Header=BB1_30 Depth=1
	s_or_b64 exec, exec, s[6:7]
	s_lshl_b64 s[6:7], s[18:19], 12
	v_cndmask_b32_e32 v39, 0, v29, vcc
	v_mov_b32_e32 v8, s7
	v_add_co_u32_e32 v26, vcc, s6, v26
	v_addc_co_u32_e32 v27, vcc, v27, v8, vcc
	v_cmp_gt_u64_e32 vcc, 57, v[28:29]
	v_and_b32_e32 v0, 0xffffff1f, v0
	v_cndmask_b32_e32 v8, 0, v36, vcc
	v_lshl_add_u32 v9, v38, 2, 28
	v_or_b32_e32 v0, v0, v8
	v_and_or_b32 v0, v9, s21, v0
	v_readfirstlane_b32 s6, v26
	v_readfirstlane_b32 s7, v27
	s_nop 4
	global_store_dwordx4 v35, v[0:3], s[6:7]
	global_store_dwordx4 v35, v[12:15], s[6:7] offset:16
	global_store_dwordx4 v35, v[16:19], s[6:7] offset:32
	global_store_dwordx4 v35, v[20:23], s[6:7] offset:48
	s_and_saveexec_b64 s[6:7], s[4:5]
	s_cbranch_execz .LBB1_102
; %bb.95:                               ;   in Loop: Header=BB1_30 Depth=1
	global_load_dwordx2 v[14:15], v31, s[10:11] offset:32 glc
	global_load_dwordx2 v[0:1], v31, s[10:11] offset:40
	v_mov_b32_e32 v12, s14
	v_mov_b32_e32 v13, s15
	s_waitcnt vmcnt(0)
	v_readfirstlane_b32 s16, v0
	v_readfirstlane_b32 s17, v1
	s_and_b64 s[16:17], s[16:17], s[14:15]
	s_mul_i32 s17, s17, 24
	s_mul_hi_u32 s18, s16, 24
	s_mul_i32 s16, s16, 24
	s_add_i32 s17, s18, s17
	v_mov_b32_e32 v0, s17
	v_add_co_u32_e32 v8, vcc, s16, v24
	v_addc_co_u32_e32 v9, vcc, v25, v0, vcc
	global_store_dwordx2 v[8:9], v[14:15], off
	s_waitcnt vmcnt(0)
	global_atomic_cmpswap_x2 v[2:3], v31, v[12:15], s[10:11] offset:32 glc
	s_waitcnt vmcnt(0)
	v_cmp_ne_u64_e32 vcc, v[2:3], v[14:15]
	s_and_saveexec_b64 s[16:17], vcc
	s_cbranch_execz .LBB1_98
; %bb.96:                               ;   in Loop: Header=BB1_30 Depth=1
	s_mov_b64 s[18:19], 0
.LBB1_97:                               ;   Parent Loop BB1_30 Depth=1
                                        ; =>  This Inner Loop Header: Depth=2
	s_sleep 1
	global_store_dwordx2 v[8:9], v[2:3], off
	v_mov_b32_e32 v0, s14
	v_mov_b32_e32 v1, s15
	s_waitcnt vmcnt(0)
	global_atomic_cmpswap_x2 v[0:1], v31, v[0:3], s[10:11] offset:32 glc
	s_waitcnt vmcnt(0)
	v_cmp_eq_u64_e32 vcc, v[0:1], v[2:3]
	v_mov_b32_e32 v3, v1
	s_or_b64 s[18:19], vcc, s[18:19]
	v_mov_b32_e32 v2, v0
	s_andn2_b64 exec, exec, s[18:19]
	s_cbranch_execnz .LBB1_97
.LBB1_98:                               ;   in Loop: Header=BB1_30 Depth=1
	s_or_b64 exec, exec, s[16:17]
	global_load_dwordx2 v[0:1], v31, s[10:11] offset:16
	s_mov_b64 s[18:19], exec
	v_mbcnt_lo_u32_b32 v2, s18, 0
	v_mbcnt_hi_u32_b32 v2, s19, v2
	v_cmp_eq_u32_e32 vcc, 0, v2
	s_and_saveexec_b64 s[16:17], vcc
	s_cbranch_execz .LBB1_100
; %bb.99:                               ;   in Loop: Header=BB1_30 Depth=1
	s_bcnt1_i32_b64 s18, s[18:19]
	v_mov_b32_e32 v30, s18
	s_waitcnt vmcnt(0)
	global_atomic_add_x2 v[0:1], v[30:31], off offset:8
.LBB1_100:                              ;   in Loop: Header=BB1_30 Depth=1
	s_or_b64 exec, exec, s[16:17]
	s_waitcnt vmcnt(0)
	global_load_dwordx2 v[2:3], v[0:1], off offset:16
	s_waitcnt vmcnt(0)
	v_cmp_eq_u64_e32 vcc, 0, v[2:3]
	s_cbranch_vccnz .LBB1_102
; %bb.101:                              ;   in Loop: Header=BB1_30 Depth=1
	global_load_dword v30, v[0:1], off offset:24
	s_waitcnt vmcnt(0)
	v_readfirstlane_b32 s16, v30
	s_and_b32 m0, s16, 0xffffff
	global_store_dwordx2 v[2:3], v[30:31], off
	s_sendmsg sendmsg(MSG_INTERRUPT)
.LBB1_102:                              ;   in Loop: Header=BB1_30 Depth=1
	s_or_b64 exec, exec, s[6:7]
	v_add_co_u32_e32 v0, vcc, v26, v35
	v_addc_co_u32_e32 v1, vcc, 0, v27, vcc
	s_branch .LBB1_106
.LBB1_103:                              ;   in Loop: Header=BB1_106 Depth=2
	s_or_b64 exec, exec, s[6:7]
	v_readfirstlane_b32 s6, v2
	s_cmp_eq_u32 s6, 0
	s_cbranch_scc1 .LBB1_105
; %bb.104:                              ;   in Loop: Header=BB1_106 Depth=2
	s_sleep 1
	s_cbranch_execnz .LBB1_106
	s_branch .LBB1_108
.LBB1_105:                              ;   in Loop: Header=BB1_30 Depth=1
	s_branch .LBB1_108
.LBB1_106:                              ;   Parent Loop BB1_30 Depth=1
                                        ; =>  This Inner Loop Header: Depth=2
	v_mov_b32_e32 v2, 1
	s_and_saveexec_b64 s[6:7], s[4:5]
	s_cbranch_execz .LBB1_103
; %bb.107:                              ;   in Loop: Header=BB1_106 Depth=2
	global_load_dword v2, v[32:33], off offset:20 glc
	s_waitcnt vmcnt(0)
	buffer_wbinvl1_vol
	v_and_b32_e32 v2, 1, v2
	s_branch .LBB1_103
.LBB1_108:                              ;   in Loop: Header=BB1_30 Depth=1
	global_load_dwordx2 v[0:1], v[0:1], off
	s_and_saveexec_b64 s[6:7], s[4:5]
	s_cbranch_execz .LBB1_29
; %bb.109:                              ;   in Loop: Header=BB1_30 Depth=1
	global_load_dwordx2 v[2:3], v31, s[10:11] offset:40
	global_load_dwordx2 v[16:17], v31, s[10:11] offset:24 glc
	global_load_dwordx2 v[8:9], v31, s[10:11]
	s_waitcnt vmcnt(2)
	v_readfirstlane_b32 s16, v2
	v_readfirstlane_b32 s17, v3
	s_add_u32 s18, s16, 1
	s_addc_u32 s19, s17, 0
	s_add_u32 s4, s18, s14
	s_addc_u32 s5, s19, s15
	s_cmp_eq_u64 s[4:5], 0
	s_cselect_b32 s5, s19, s5
	s_cselect_b32 s4, s18, s4
	s_and_b64 s[14:15], s[4:5], s[16:17]
	s_mul_i32 s15, s15, 24
	s_mul_hi_u32 s16, s14, 24
	s_mul_i32 s14, s14, 24
	s_add_i32 s15, s16, s15
	v_mov_b32_e32 v3, s15
	s_waitcnt vmcnt(0)
	v_add_co_u32_e32 v2, vcc, s14, v8
	v_addc_co_u32_e32 v3, vcc, v9, v3, vcc
	v_mov_b32_e32 v14, s4
	global_store_dwordx2 v[2:3], v[16:17], off
	v_mov_b32_e32 v15, s5
	s_waitcnt vmcnt(0)
	global_atomic_cmpswap_x2 v[14:15], v31, v[14:17], s[10:11] offset:24 glc
	s_waitcnt vmcnt(0)
	v_cmp_ne_u64_e32 vcc, v[14:15], v[16:17]
	s_and_b64 exec, exec, vcc
	s_cbranch_execz .LBB1_29
; %bb.110:                              ;   in Loop: Header=BB1_30 Depth=1
	s_mov_b64 s[14:15], 0
.LBB1_111:                              ;   Parent Loop BB1_30 Depth=1
                                        ; =>  This Inner Loop Header: Depth=2
	s_sleep 1
	global_store_dwordx2 v[2:3], v[14:15], off
	v_mov_b32_e32 v12, s4
	v_mov_b32_e32 v13, s5
	s_waitcnt vmcnt(0)
	global_atomic_cmpswap_x2 v[8:9], v31, v[12:15], s[10:11] offset:24 glc
	s_waitcnt vmcnt(0)
	v_cmp_eq_u64_e32 vcc, v[8:9], v[14:15]
	v_mov_b32_e32 v15, v9
	s_or_b64 s[14:15], vcc, s[14:15]
	v_mov_b32_e32 v14, v8
	s_andn2_b64 exec, exec, s[14:15]
	s_cbranch_execnz .LBB1_111
	s_branch .LBB1_29
.LBB1_112:
                                        ; implicit-def: $vgpr0_vgpr1
	s_cbranch_execnz .LBB1_114
	s_branch .LBB1_140
.LBB1_113:
	s_or_b64 exec, exec, s[12:13]
	s_branch .LBB1_140
.LBB1_114:
	v_readfirstlane_b32 s4, v34
	v_mov_b32_e32 v9, 0
	v_mov_b32_e32 v10, 0
	v_cmp_eq_u32_e64 s[4:5], s4, v34
	s_and_saveexec_b64 s[6:7], s[4:5]
	s_cbranch_execz .LBB1_120
; %bb.115:
	s_waitcnt vmcnt(0)
	v_mov_b32_e32 v0, 0
	global_load_dwordx2 v[11:12], v0, s[10:11] offset:24 glc
	s_waitcnt vmcnt(0)
	buffer_wbinvl1_vol
	global_load_dwordx2 v[1:2], v0, s[10:11] offset:40
	global_load_dwordx2 v[8:9], v0, s[10:11]
	s_waitcnt vmcnt(1)
	v_and_b32_e32 v1, v1, v11
	v_and_b32_e32 v2, v2, v12
	v_mul_lo_u32 v2, v2, 24
	v_mul_hi_u32 v3, v1, 24
	v_mul_lo_u32 v1, v1, 24
	v_add_u32_e32 v2, v3, v2
	s_waitcnt vmcnt(0)
	v_add_co_u32_e32 v1, vcc, v8, v1
	v_addc_co_u32_e32 v2, vcc, v9, v2, vcc
	global_load_dwordx2 v[9:10], v[1:2], off glc
	s_waitcnt vmcnt(0)
	global_atomic_cmpswap_x2 v[9:10], v0, v[9:12], s[10:11] offset:24 glc
	s_waitcnt vmcnt(0)
	buffer_wbinvl1_vol
	v_cmp_ne_u64_e32 vcc, v[9:10], v[11:12]
	s_and_saveexec_b64 s[12:13], vcc
	s_cbranch_execz .LBB1_119
; %bb.116:
	s_mov_b64 s[14:15], 0
.LBB1_117:                              ; =>This Inner Loop Header: Depth=1
	s_sleep 1
	global_load_dwordx2 v[1:2], v0, s[10:11] offset:40
	global_load_dwordx2 v[13:14], v0, s[10:11]
	v_mov_b32_e32 v12, v10
	v_mov_b32_e32 v11, v9
	s_waitcnt vmcnt(1)
	v_and_b32_e32 v1, v1, v11
	s_waitcnt vmcnt(0)
	v_mad_u64_u32 v[8:9], s[16:17], v1, 24, v[13:14]
	v_and_b32_e32 v2, v2, v12
	v_mov_b32_e32 v1, v9
	v_mad_u64_u32 v[1:2], s[16:17], v2, 24, v[1:2]
	v_mov_b32_e32 v9, v1
	global_load_dwordx2 v[9:10], v[8:9], off glc
	s_waitcnt vmcnt(0)
	global_atomic_cmpswap_x2 v[9:10], v0, v[9:12], s[10:11] offset:24 glc
	s_waitcnt vmcnt(0)
	buffer_wbinvl1_vol
	v_cmp_eq_u64_e32 vcc, v[9:10], v[11:12]
	s_or_b64 s[14:15], vcc, s[14:15]
	s_andn2_b64 exec, exec, s[14:15]
	s_cbranch_execnz .LBB1_117
; %bb.118:
	s_or_b64 exec, exec, s[14:15]
.LBB1_119:
	s_or_b64 exec, exec, s[12:13]
.LBB1_120:
	s_or_b64 exec, exec, s[6:7]
	v_mov_b32_e32 v8, 0
	global_load_dwordx2 v[11:12], v8, s[10:11] offset:40
	global_load_dwordx4 v[0:3], v8, s[10:11]
	v_readfirstlane_b32 s7, v10
	v_readfirstlane_b32 s6, v9
	s_mov_b64 s[12:13], exec
	s_waitcnt vmcnt(1)
	v_readfirstlane_b32 s14, v11
	v_readfirstlane_b32 s15, v12
	s_and_b64 s[14:15], s[14:15], s[6:7]
	s_mul_i32 s16, s15, 24
	s_mul_hi_u32 s17, s14, 24
	s_mul_i32 s18, s14, 24
	s_add_i32 s16, s17, s16
	v_mov_b32_e32 v9, s16
	s_waitcnt vmcnt(0)
	v_add_co_u32_e32 v10, vcc, s18, v0
	v_addc_co_u32_e32 v11, vcc, v1, v9, vcc
	s_and_saveexec_b64 s[16:17], s[4:5]
	s_cbranch_execz .LBB1_122
; %bb.121:
	v_mov_b32_e32 v12, s12
	v_mov_b32_e32 v13, s13
	;; [unrolled: 1-line block ×4, first 2 shown]
	global_store_dwordx4 v[10:11], v[12:15], off offset:8
.LBB1_122:
	s_or_b64 exec, exec, s[16:17]
	s_lshl_b64 s[12:13], s[14:15], 12
	v_mov_b32_e32 v9, s13
	v_add_co_u32_e32 v2, vcc, s12, v2
	v_addc_co_u32_e32 v3, vcc, v3, v9, vcc
	s_movk_i32 s12, 0xff1f
	v_and_or_b32 v6, v6, s12, 32
	s_mov_b32 s12, 0
	v_mov_b32_e32 v9, v8
	v_readfirstlane_b32 s16, v2
	v_readfirstlane_b32 s17, v3
	v_add_co_u32_e32 v12, vcc, v2, v35
	s_mov_b32 s13, s12
	s_mov_b32 s14, s12
	;; [unrolled: 1-line block ×3, first 2 shown]
	s_nop 0
	global_store_dwordx4 v35, v[6:9], s[16:17]
	v_addc_co_u32_e32 v13, vcc, 0, v3, vcc
	v_mov_b32_e32 v6, s12
	v_mov_b32_e32 v7, s13
	;; [unrolled: 1-line block ×4, first 2 shown]
	global_store_dwordx4 v35, v[6:9], s[16:17] offset:16
	global_store_dwordx4 v35, v[6:9], s[16:17] offset:32
	;; [unrolled: 1-line block ×3, first 2 shown]
	s_and_saveexec_b64 s[12:13], s[4:5]
	s_cbranch_execz .LBB1_130
; %bb.123:
	v_mov_b32_e32 v8, 0
	global_load_dwordx2 v[16:17], v8, s[10:11] offset:32 glc
	global_load_dwordx2 v[2:3], v8, s[10:11] offset:40
	v_mov_b32_e32 v14, s6
	v_mov_b32_e32 v15, s7
	s_waitcnt vmcnt(0)
	v_readfirstlane_b32 s14, v2
	v_readfirstlane_b32 s15, v3
	s_and_b64 s[14:15], s[14:15], s[6:7]
	s_mul_i32 s15, s15, 24
	s_mul_hi_u32 s16, s14, 24
	s_mul_i32 s14, s14, 24
	s_add_i32 s15, s16, s15
	v_mov_b32_e32 v2, s15
	v_add_co_u32_e32 v6, vcc, s14, v0
	v_addc_co_u32_e32 v7, vcc, v1, v2, vcc
	global_store_dwordx2 v[6:7], v[16:17], off
	s_waitcnt vmcnt(0)
	global_atomic_cmpswap_x2 v[2:3], v8, v[14:17], s[10:11] offset:32 glc
	s_waitcnt vmcnt(0)
	v_cmp_ne_u64_e32 vcc, v[2:3], v[16:17]
	s_and_saveexec_b64 s[14:15], vcc
	s_cbranch_execz .LBB1_126
; %bb.124:
	s_mov_b64 s[16:17], 0
.LBB1_125:                              ; =>This Inner Loop Header: Depth=1
	s_sleep 1
	global_store_dwordx2 v[6:7], v[2:3], off
	v_mov_b32_e32 v0, s6
	v_mov_b32_e32 v1, s7
	s_waitcnt vmcnt(0)
	global_atomic_cmpswap_x2 v[0:1], v8, v[0:3], s[10:11] offset:32 glc
	s_waitcnt vmcnt(0)
	v_cmp_eq_u64_e32 vcc, v[0:1], v[2:3]
	v_mov_b32_e32 v3, v1
	s_or_b64 s[16:17], vcc, s[16:17]
	v_mov_b32_e32 v2, v0
	s_andn2_b64 exec, exec, s[16:17]
	s_cbranch_execnz .LBB1_125
.LBB1_126:
	s_or_b64 exec, exec, s[14:15]
	v_mov_b32_e32 v3, 0
	global_load_dwordx2 v[0:1], v3, s[10:11] offset:16
	s_mov_b64 s[14:15], exec
	v_mbcnt_lo_u32_b32 v2, s14, 0
	v_mbcnt_hi_u32_b32 v2, s15, v2
	v_cmp_eq_u32_e32 vcc, 0, v2
	s_and_saveexec_b64 s[16:17], vcc
	s_cbranch_execz .LBB1_128
; %bb.127:
	s_bcnt1_i32_b64 s14, s[14:15]
	v_mov_b32_e32 v2, s14
	s_waitcnt vmcnt(0)
	global_atomic_add_x2 v[0:1], v[2:3], off offset:8
.LBB1_128:
	s_or_b64 exec, exec, s[16:17]
	s_waitcnt vmcnt(0)
	global_load_dwordx2 v[2:3], v[0:1], off offset:16
	s_waitcnt vmcnt(0)
	v_cmp_eq_u64_e32 vcc, 0, v[2:3]
	s_cbranch_vccnz .LBB1_130
; %bb.129:
	global_load_dword v0, v[0:1], off offset:24
	v_mov_b32_e32 v1, 0
	s_waitcnt vmcnt(0)
	v_readfirstlane_b32 s14, v0
	s_and_b32 m0, s14, 0xffffff
	global_store_dwordx2 v[2:3], v[0:1], off
	s_sendmsg sendmsg(MSG_INTERRUPT)
.LBB1_130:
	s_or_b64 exec, exec, s[12:13]
	s_branch .LBB1_134
.LBB1_131:                              ;   in Loop: Header=BB1_134 Depth=1
	s_or_b64 exec, exec, s[12:13]
	v_readfirstlane_b32 s12, v0
	s_cmp_eq_u32 s12, 0
	s_cbranch_scc1 .LBB1_133
; %bb.132:                              ;   in Loop: Header=BB1_134 Depth=1
	s_sleep 1
	s_cbranch_execnz .LBB1_134
	s_branch .LBB1_136
.LBB1_133:
	s_branch .LBB1_136
.LBB1_134:                              ; =>This Inner Loop Header: Depth=1
	v_mov_b32_e32 v0, 1
	s_and_saveexec_b64 s[12:13], s[4:5]
	s_cbranch_execz .LBB1_131
; %bb.135:                              ;   in Loop: Header=BB1_134 Depth=1
	global_load_dword v0, v[10:11], off offset:20 glc
	s_waitcnt vmcnt(0)
	buffer_wbinvl1_vol
	v_and_b32_e32 v0, 1, v0
	s_branch .LBB1_131
.LBB1_136:
	global_load_dwordx2 v[0:1], v[12:13], off
	s_and_saveexec_b64 s[12:13], s[4:5]
	s_cbranch_execz .LBB1_139
; %bb.137:
	v_mov_b32_e32 v10, 0
	global_load_dwordx2 v[2:3], v10, s[10:11] offset:40
	global_load_dwordx2 v[13:14], v10, s[10:11] offset:24 glc
	global_load_dwordx2 v[6:7], v10, s[10:11]
	s_waitcnt vmcnt(2)
	v_readfirstlane_b32 s14, v2
	v_readfirstlane_b32 s15, v3
	s_add_u32 s16, s14, 1
	s_addc_u32 s17, s15, 0
	s_add_u32 s4, s16, s6
	s_addc_u32 s5, s17, s7
	s_cmp_eq_u64 s[4:5], 0
	s_cselect_b32 s5, s17, s5
	s_cselect_b32 s4, s16, s4
	s_and_b64 s[6:7], s[4:5], s[14:15]
	s_mul_i32 s7, s7, 24
	s_mul_hi_u32 s14, s6, 24
	s_mul_i32 s6, s6, 24
	s_add_i32 s7, s14, s7
	v_mov_b32_e32 v3, s7
	s_waitcnt vmcnt(0)
	v_add_co_u32_e32 v2, vcc, s6, v6
	v_addc_co_u32_e32 v3, vcc, v7, v3, vcc
	v_mov_b32_e32 v11, s4
	global_store_dwordx2 v[2:3], v[13:14], off
	v_mov_b32_e32 v12, s5
	s_waitcnt vmcnt(0)
	global_atomic_cmpswap_x2 v[8:9], v10, v[11:14], s[10:11] offset:24 glc
	s_mov_b64 s[6:7], 0
	s_waitcnt vmcnt(0)
	v_cmp_ne_u64_e32 vcc, v[8:9], v[13:14]
	s_and_b64 exec, exec, vcc
	s_cbranch_execz .LBB1_139
.LBB1_138:                              ; =>This Inner Loop Header: Depth=1
	s_sleep 1
	global_store_dwordx2 v[2:3], v[8:9], off
	v_mov_b32_e32 v6, s4
	v_mov_b32_e32 v7, s5
	s_waitcnt vmcnt(0)
	global_atomic_cmpswap_x2 v[6:7], v10, v[6:9], s[10:11] offset:24 glc
	s_waitcnt vmcnt(0)
	v_cmp_eq_u64_e32 vcc, v[6:7], v[8:9]
	v_mov_b32_e32 v9, v7
	s_or_b64 s[6:7], vcc, s[6:7]
	v_mov_b32_e32 v8, v6
	s_andn2_b64 exec, exec, s[6:7]
	s_cbranch_execnz .LBB1_138
.LBB1_139:
	s_or_b64 exec, exec, s[12:13]
.LBB1_140:
	s_getpc_b64 s[6:7]
	s_add_u32 s6, s6, .str.4@rel32@lo+4
	s_addc_u32 s7, s7, .str.4@rel32@hi+12
	s_cmp_lg_u64 s[6:7], 0
	s_cbranch_scc0 .LBB1_225
; %bb.141:
	s_getpc_b64 s[4:5]
	s_add_u32 s4, s4, .str.4@rel32@lo+80
	s_addc_u32 s5, s5, .str.4@rel32@hi+88
	s_sub_i32 s12, s4, s6
	s_ashr_i32 s13, s12, 31
	s_waitcnt vmcnt(0)
	v_and_b32_e32 v32, 2, v0
	v_mov_b32_e32 v3, 0
	v_and_b32_e32 v6, -3, v0
	v_mov_b32_e32 v7, v1
	v_mov_b32_e32 v12, 2
	;; [unrolled: 1-line block ×3, first 2 shown]
	s_branch .LBB1_143
.LBB1_142:                              ;   in Loop: Header=BB1_143 Depth=1
	s_or_b64 exec, exec, s[18:19]
	s_sub_u32 s12, s12, s14
	s_subb_u32 s13, s13, s15
	s_add_u32 s6, s6, s14
	s_addc_u32 s7, s7, s15
	s_cmp_lg_u64 s[12:13], 0
	s_cbranch_scc0 .LBB1_226
.LBB1_143:                              ; =>This Loop Header: Depth=1
                                        ;     Child Loop BB1_146 Depth 2
                                        ;     Child Loop BB1_154 Depth 2
                                        ;     Child Loop BB1_162 Depth 2
                                        ;     Child Loop BB1_170 Depth 2
                                        ;     Child Loop BB1_178 Depth 2
                                        ;     Child Loop BB1_186 Depth 2
                                        ;     Child Loop BB1_194 Depth 2
                                        ;     Child Loop BB1_202 Depth 2
                                        ;     Child Loop BB1_210 Depth 2
                                        ;     Child Loop BB1_219 Depth 2
                                        ;     Child Loop BB1_224 Depth 2
	v_cmp_lt_u64_e64 s[4:5], s[12:13], 56
	v_cmp_gt_u64_e64 s[16:17], s[12:13], 7
	s_and_b64 s[4:5], s[4:5], exec
	s_cselect_b32 s15, s13, 0
	s_cselect_b32 s14, s12, 56
	s_add_u32 s4, s6, 8
	s_addc_u32 s5, s7, 0
	s_and_b64 vcc, exec, s[16:17]
	s_cbranch_vccnz .LBB1_147
; %bb.144:                              ;   in Loop: Header=BB1_143 Depth=1
	s_cmp_eq_u64 s[12:13], 0
	s_cbranch_scc1 .LBB1_148
; %bb.145:                              ;   in Loop: Header=BB1_143 Depth=1
	v_mov_b32_e32 v8, 0
	s_lshl_b64 s[4:5], s[14:15], 3
	s_mov_b64 s[16:17], 0
	v_mov_b32_e32 v9, 0
	s_mov_b64 s[18:19], s[6:7]
.LBB1_146:                              ;   Parent Loop BB1_143 Depth=1
                                        ; =>  This Inner Loop Header: Depth=2
	global_load_ubyte v2, v3, s[18:19]
	s_waitcnt vmcnt(0)
	v_and_b32_e32 v2, 0xffff, v2
	v_lshlrev_b64 v[10:11], s16, v[2:3]
	s_add_u32 s16, s16, 8
	s_addc_u32 s17, s17, 0
	s_add_u32 s18, s18, 1
	s_addc_u32 s19, s19, 0
	v_or_b32_e32 v8, v10, v8
	s_cmp_lg_u32 s4, s16
	v_or_b32_e32 v9, v11, v9
	s_cbranch_scc1 .LBB1_146
	s_branch .LBB1_149
.LBB1_147:                              ;   in Loop: Header=BB1_143 Depth=1
	s_mov_b32 s20, 0
	s_branch .LBB1_150
.LBB1_148:                              ;   in Loop: Header=BB1_143 Depth=1
	v_mov_b32_e32 v8, 0
	v_mov_b32_e32 v9, 0
.LBB1_149:                              ;   in Loop: Header=BB1_143 Depth=1
	s_mov_b64 s[4:5], s[6:7]
	s_mov_b32 s20, 0
	s_cbranch_execnz .LBB1_151
.LBB1_150:                              ;   in Loop: Header=BB1_143 Depth=1
	global_load_dwordx2 v[8:9], v3, s[6:7]
	s_add_i32 s20, s14, -8
.LBB1_151:                              ;   in Loop: Header=BB1_143 Depth=1
	s_add_u32 s16, s4, 8
	s_addc_u32 s17, s5, 0
	s_cmp_gt_u32 s20, 7
	s_cbranch_scc1 .LBB1_155
; %bb.152:                              ;   in Loop: Header=BB1_143 Depth=1
	s_cmp_eq_u32 s20, 0
	s_cbranch_scc1 .LBB1_156
; %bb.153:                              ;   in Loop: Header=BB1_143 Depth=1
	v_mov_b32_e32 v14, 0
	s_mov_b64 s[16:17], 0
	v_mov_b32_e32 v15, 0
	s_mov_b64 s[18:19], 0
.LBB1_154:                              ;   Parent Loop BB1_143 Depth=1
                                        ; =>  This Inner Loop Header: Depth=2
	s_add_u32 s22, s4, s18
	s_addc_u32 s23, s5, s19
	global_load_ubyte v2, v3, s[22:23]
	s_add_u32 s18, s18, 1
	s_addc_u32 s19, s19, 0
	s_waitcnt vmcnt(0)
	v_and_b32_e32 v2, 0xffff, v2
	v_lshlrev_b64 v[10:11], s16, v[2:3]
	s_add_u32 s16, s16, 8
	s_addc_u32 s17, s17, 0
	v_or_b32_e32 v14, v10, v14
	s_cmp_lg_u32 s20, s18
	v_or_b32_e32 v15, v11, v15
	s_cbranch_scc1 .LBB1_154
	s_branch .LBB1_157
.LBB1_155:                              ;   in Loop: Header=BB1_143 Depth=1
                                        ; implicit-def: $vgpr14_vgpr15
	s_mov_b32 s21, 0
	s_branch .LBB1_158
.LBB1_156:                              ;   in Loop: Header=BB1_143 Depth=1
	v_mov_b32_e32 v14, 0
	v_mov_b32_e32 v15, 0
.LBB1_157:                              ;   in Loop: Header=BB1_143 Depth=1
	s_mov_b64 s[16:17], s[4:5]
	s_mov_b32 s21, 0
	s_cbranch_execnz .LBB1_159
.LBB1_158:                              ;   in Loop: Header=BB1_143 Depth=1
	global_load_dwordx2 v[14:15], v3, s[4:5]
	s_add_i32 s21, s20, -8
.LBB1_159:                              ;   in Loop: Header=BB1_143 Depth=1
	s_add_u32 s4, s16, 8
	s_addc_u32 s5, s17, 0
	s_cmp_gt_u32 s21, 7
	s_cbranch_scc1 .LBB1_163
; %bb.160:                              ;   in Loop: Header=BB1_143 Depth=1
	s_cmp_eq_u32 s21, 0
	s_cbranch_scc1 .LBB1_164
; %bb.161:                              ;   in Loop: Header=BB1_143 Depth=1
	v_mov_b32_e32 v16, 0
	s_mov_b64 s[4:5], 0
	v_mov_b32_e32 v17, 0
	s_mov_b64 s[18:19], 0
.LBB1_162:                              ;   Parent Loop BB1_143 Depth=1
                                        ; =>  This Inner Loop Header: Depth=2
	s_add_u32 s22, s16, s18
	s_addc_u32 s23, s17, s19
	global_load_ubyte v2, v3, s[22:23]
	s_add_u32 s18, s18, 1
	s_addc_u32 s19, s19, 0
	s_waitcnt vmcnt(0)
	v_and_b32_e32 v2, 0xffff, v2
	v_lshlrev_b64 v[10:11], s4, v[2:3]
	s_add_u32 s4, s4, 8
	s_addc_u32 s5, s5, 0
	v_or_b32_e32 v16, v10, v16
	s_cmp_lg_u32 s21, s18
	v_or_b32_e32 v17, v11, v17
	s_cbranch_scc1 .LBB1_162
	s_branch .LBB1_165
.LBB1_163:                              ;   in Loop: Header=BB1_143 Depth=1
	s_mov_b32 s20, 0
	s_branch .LBB1_166
.LBB1_164:                              ;   in Loop: Header=BB1_143 Depth=1
	v_mov_b32_e32 v16, 0
	v_mov_b32_e32 v17, 0
.LBB1_165:                              ;   in Loop: Header=BB1_143 Depth=1
	s_mov_b64 s[4:5], s[16:17]
	s_mov_b32 s20, 0
	s_cbranch_execnz .LBB1_167
.LBB1_166:                              ;   in Loop: Header=BB1_143 Depth=1
	global_load_dwordx2 v[16:17], v3, s[16:17]
	s_add_i32 s20, s21, -8
.LBB1_167:                              ;   in Loop: Header=BB1_143 Depth=1
	s_add_u32 s16, s4, 8
	s_addc_u32 s17, s5, 0
	s_cmp_gt_u32 s20, 7
	s_cbranch_scc1 .LBB1_171
; %bb.168:                              ;   in Loop: Header=BB1_143 Depth=1
	s_cmp_eq_u32 s20, 0
	s_cbranch_scc1 .LBB1_172
; %bb.169:                              ;   in Loop: Header=BB1_143 Depth=1
	v_mov_b32_e32 v18, 0
	s_mov_b64 s[16:17], 0
	v_mov_b32_e32 v19, 0
	s_mov_b64 s[18:19], 0
.LBB1_170:                              ;   Parent Loop BB1_143 Depth=1
                                        ; =>  This Inner Loop Header: Depth=2
	s_add_u32 s22, s4, s18
	s_addc_u32 s23, s5, s19
	global_load_ubyte v2, v3, s[22:23]
	s_add_u32 s18, s18, 1
	s_addc_u32 s19, s19, 0
	s_waitcnt vmcnt(0)
	v_and_b32_e32 v2, 0xffff, v2
	v_lshlrev_b64 v[10:11], s16, v[2:3]
	s_add_u32 s16, s16, 8
	s_addc_u32 s17, s17, 0
	v_or_b32_e32 v18, v10, v18
	s_cmp_lg_u32 s20, s18
	v_or_b32_e32 v19, v11, v19
	s_cbranch_scc1 .LBB1_170
	s_branch .LBB1_173
.LBB1_171:                              ;   in Loop: Header=BB1_143 Depth=1
                                        ; implicit-def: $vgpr18_vgpr19
	s_mov_b32 s21, 0
	s_branch .LBB1_174
.LBB1_172:                              ;   in Loop: Header=BB1_143 Depth=1
	v_mov_b32_e32 v18, 0
	v_mov_b32_e32 v19, 0
.LBB1_173:                              ;   in Loop: Header=BB1_143 Depth=1
	s_mov_b64 s[16:17], s[4:5]
	s_mov_b32 s21, 0
	s_cbranch_execnz .LBB1_175
.LBB1_174:                              ;   in Loop: Header=BB1_143 Depth=1
	global_load_dwordx2 v[18:19], v3, s[4:5]
	s_add_i32 s21, s20, -8
.LBB1_175:                              ;   in Loop: Header=BB1_143 Depth=1
	s_add_u32 s4, s16, 8
	s_addc_u32 s5, s17, 0
	s_cmp_gt_u32 s21, 7
	s_cbranch_scc1 .LBB1_179
; %bb.176:                              ;   in Loop: Header=BB1_143 Depth=1
	s_cmp_eq_u32 s21, 0
	s_cbranch_scc1 .LBB1_180
; %bb.177:                              ;   in Loop: Header=BB1_143 Depth=1
	v_mov_b32_e32 v20, 0
	s_mov_b64 s[4:5], 0
	v_mov_b32_e32 v21, 0
	s_mov_b64 s[18:19], 0
.LBB1_178:                              ;   Parent Loop BB1_143 Depth=1
                                        ; =>  This Inner Loop Header: Depth=2
	s_add_u32 s22, s16, s18
	s_addc_u32 s23, s17, s19
	global_load_ubyte v2, v3, s[22:23]
	s_add_u32 s18, s18, 1
	s_addc_u32 s19, s19, 0
	s_waitcnt vmcnt(0)
	v_and_b32_e32 v2, 0xffff, v2
	v_lshlrev_b64 v[10:11], s4, v[2:3]
	s_add_u32 s4, s4, 8
	s_addc_u32 s5, s5, 0
	v_or_b32_e32 v20, v10, v20
	s_cmp_lg_u32 s21, s18
	v_or_b32_e32 v21, v11, v21
	s_cbranch_scc1 .LBB1_178
	s_branch .LBB1_181
.LBB1_179:                              ;   in Loop: Header=BB1_143 Depth=1
	s_mov_b32 s20, 0
	s_branch .LBB1_182
.LBB1_180:                              ;   in Loop: Header=BB1_143 Depth=1
	v_mov_b32_e32 v20, 0
	v_mov_b32_e32 v21, 0
.LBB1_181:                              ;   in Loop: Header=BB1_143 Depth=1
	s_mov_b64 s[4:5], s[16:17]
	s_mov_b32 s20, 0
	s_cbranch_execnz .LBB1_183
.LBB1_182:                              ;   in Loop: Header=BB1_143 Depth=1
	global_load_dwordx2 v[20:21], v3, s[16:17]
	s_add_i32 s20, s21, -8
.LBB1_183:                              ;   in Loop: Header=BB1_143 Depth=1
	s_add_u32 s16, s4, 8
	s_addc_u32 s17, s5, 0
	s_cmp_gt_u32 s20, 7
	s_cbranch_scc1 .LBB1_187
; %bb.184:                              ;   in Loop: Header=BB1_143 Depth=1
	s_cmp_eq_u32 s20, 0
	s_cbranch_scc1 .LBB1_188
; %bb.185:                              ;   in Loop: Header=BB1_143 Depth=1
	v_mov_b32_e32 v22, 0
	s_mov_b64 s[16:17], 0
	v_mov_b32_e32 v23, 0
	s_mov_b64 s[18:19], 0
.LBB1_186:                              ;   Parent Loop BB1_143 Depth=1
                                        ; =>  This Inner Loop Header: Depth=2
	s_add_u32 s22, s4, s18
	s_addc_u32 s23, s5, s19
	global_load_ubyte v2, v3, s[22:23]
	s_add_u32 s18, s18, 1
	s_addc_u32 s19, s19, 0
	s_waitcnt vmcnt(0)
	v_and_b32_e32 v2, 0xffff, v2
	v_lshlrev_b64 v[10:11], s16, v[2:3]
	s_add_u32 s16, s16, 8
	s_addc_u32 s17, s17, 0
	v_or_b32_e32 v22, v10, v22
	s_cmp_lg_u32 s20, s18
	v_or_b32_e32 v23, v11, v23
	s_cbranch_scc1 .LBB1_186
	s_branch .LBB1_189
.LBB1_187:                              ;   in Loop: Header=BB1_143 Depth=1
                                        ; implicit-def: $vgpr22_vgpr23
	s_mov_b32 s21, 0
	s_branch .LBB1_190
.LBB1_188:                              ;   in Loop: Header=BB1_143 Depth=1
	v_mov_b32_e32 v22, 0
	v_mov_b32_e32 v23, 0
.LBB1_189:                              ;   in Loop: Header=BB1_143 Depth=1
	s_mov_b64 s[16:17], s[4:5]
	s_mov_b32 s21, 0
	s_cbranch_execnz .LBB1_191
.LBB1_190:                              ;   in Loop: Header=BB1_143 Depth=1
	global_load_dwordx2 v[22:23], v3, s[4:5]
	s_add_i32 s21, s20, -8
.LBB1_191:                              ;   in Loop: Header=BB1_143 Depth=1
	s_cmp_gt_u32 s21, 7
	s_cbranch_scc1 .LBB1_195
; %bb.192:                              ;   in Loop: Header=BB1_143 Depth=1
	s_cmp_eq_u32 s21, 0
	s_cbranch_scc1 .LBB1_196
; %bb.193:                              ;   in Loop: Header=BB1_143 Depth=1
	v_mov_b32_e32 v24, 0
	s_mov_b64 s[4:5], 0
	v_mov_b32_e32 v25, 0
	s_mov_b64 s[18:19], s[16:17]
.LBB1_194:                              ;   Parent Loop BB1_143 Depth=1
                                        ; =>  This Inner Loop Header: Depth=2
	global_load_ubyte v2, v3, s[18:19]
	s_add_i32 s21, s21, -1
	s_waitcnt vmcnt(0)
	v_and_b32_e32 v2, 0xffff, v2
	v_lshlrev_b64 v[10:11], s4, v[2:3]
	s_add_u32 s4, s4, 8
	s_addc_u32 s5, s5, 0
	s_add_u32 s18, s18, 1
	s_addc_u32 s19, s19, 0
	v_or_b32_e32 v24, v10, v24
	s_cmp_lg_u32 s21, 0
	v_or_b32_e32 v25, v11, v25
	s_cbranch_scc1 .LBB1_194
	s_branch .LBB1_197
.LBB1_195:                              ;   in Loop: Header=BB1_143 Depth=1
	s_branch .LBB1_198
.LBB1_196:                              ;   in Loop: Header=BB1_143 Depth=1
	v_mov_b32_e32 v24, 0
	v_mov_b32_e32 v25, 0
.LBB1_197:                              ;   in Loop: Header=BB1_143 Depth=1
	s_cbranch_execnz .LBB1_199
.LBB1_198:                              ;   in Loop: Header=BB1_143 Depth=1
	global_load_dwordx2 v[24:25], v3, s[16:17]
.LBB1_199:                              ;   in Loop: Header=BB1_143 Depth=1
	v_readfirstlane_b32 s4, v34
	v_mov_b32_e32 v10, 0
	v_mov_b32_e32 v11, 0
	v_cmp_eq_u32_e64 s[4:5], s4, v34
	s_and_saveexec_b64 s[16:17], s[4:5]
	s_cbranch_execz .LBB1_205
; %bb.200:                              ;   in Loop: Header=BB1_143 Depth=1
	global_load_dwordx2 v[28:29], v3, s[10:11] offset:24 glc
	s_waitcnt vmcnt(0)
	buffer_wbinvl1_vol
	global_load_dwordx2 v[10:11], v3, s[10:11] offset:40
	global_load_dwordx2 v[26:27], v3, s[10:11]
	s_waitcnt vmcnt(1)
	v_and_b32_e32 v2, v10, v28
	v_and_b32_e32 v10, v11, v29
	v_mul_lo_u32 v10, v10, 24
	v_mul_hi_u32 v11, v2, 24
	v_mul_lo_u32 v2, v2, 24
	v_add_u32_e32 v11, v11, v10
	s_waitcnt vmcnt(0)
	v_add_co_u32_e32 v10, vcc, v26, v2
	v_addc_co_u32_e32 v11, vcc, v27, v11, vcc
	global_load_dwordx2 v[26:27], v[10:11], off glc
	s_waitcnt vmcnt(0)
	global_atomic_cmpswap_x2 v[10:11], v3, v[26:29], s[10:11] offset:24 glc
	s_waitcnt vmcnt(0)
	buffer_wbinvl1_vol
	v_cmp_ne_u64_e32 vcc, v[10:11], v[28:29]
	s_and_saveexec_b64 s[18:19], vcc
	s_cbranch_execz .LBB1_204
; %bb.201:                              ;   in Loop: Header=BB1_143 Depth=1
	s_mov_b64 s[20:21], 0
.LBB1_202:                              ;   Parent Loop BB1_143 Depth=1
                                        ; =>  This Inner Loop Header: Depth=2
	s_sleep 1
	global_load_dwordx2 v[26:27], v3, s[10:11] offset:40
	global_load_dwordx2 v[30:31], v3, s[10:11]
	v_mov_b32_e32 v29, v11
	v_mov_b32_e32 v28, v10
	s_waitcnt vmcnt(1)
	v_and_b32_e32 v2, v26, v28
	s_waitcnt vmcnt(0)
	v_mad_u64_u32 v[10:11], s[22:23], v2, 24, v[30:31]
	v_and_b32_e32 v26, v27, v29
	v_mov_b32_e32 v2, v11
	v_mad_u64_u32 v[26:27], s[22:23], v26, 24, v[2:3]
	v_mov_b32_e32 v11, v26
	global_load_dwordx2 v[26:27], v[10:11], off glc
	s_waitcnt vmcnt(0)
	global_atomic_cmpswap_x2 v[10:11], v3, v[26:29], s[10:11] offset:24 glc
	s_waitcnt vmcnt(0)
	buffer_wbinvl1_vol
	v_cmp_eq_u64_e32 vcc, v[10:11], v[28:29]
	s_or_b64 s[20:21], vcc, s[20:21]
	s_andn2_b64 exec, exec, s[20:21]
	s_cbranch_execnz .LBB1_202
; %bb.203:                              ;   in Loop: Header=BB1_143 Depth=1
	s_or_b64 exec, exec, s[20:21]
.LBB1_204:                              ;   in Loop: Header=BB1_143 Depth=1
	s_or_b64 exec, exec, s[18:19]
.LBB1_205:                              ;   in Loop: Header=BB1_143 Depth=1
	s_or_b64 exec, exec, s[16:17]
	global_load_dwordx2 v[30:31], v3, s[10:11] offset:40
	global_load_dwordx4 v[26:29], v3, s[10:11]
	v_readfirstlane_b32 s17, v11
	v_readfirstlane_b32 s16, v10
	s_mov_b64 s[18:19], exec
	s_waitcnt vmcnt(1)
	v_readfirstlane_b32 s20, v30
	v_readfirstlane_b32 s21, v31
	s_and_b64 s[20:21], s[20:21], s[16:17]
	s_mul_i32 s22, s21, 24
	s_mul_hi_u32 s23, s20, 24
	s_mul_i32 s24, s20, 24
	s_add_i32 s22, s23, s22
	v_mov_b32_e32 v2, s22
	s_waitcnt vmcnt(0)
	v_add_co_u32_e32 v30, vcc, s24, v26
	v_addc_co_u32_e32 v31, vcc, v27, v2, vcc
	s_and_saveexec_b64 s[22:23], s[4:5]
	s_cbranch_execz .LBB1_207
; %bb.206:                              ;   in Loop: Header=BB1_143 Depth=1
	v_mov_b32_e32 v10, s18
	v_mov_b32_e32 v11, s19
	global_store_dwordx4 v[30:31], v[10:13], off offset:8
.LBB1_207:                              ;   in Loop: Header=BB1_143 Depth=1
	s_or_b64 exec, exec, s[22:23]
	s_lshl_b64 s[18:19], s[20:21], 12
	v_mov_b32_e32 v2, s19
	v_add_co_u32_e32 v28, vcc, s18, v28
	v_addc_co_u32_e32 v29, vcc, v29, v2, vcc
	v_cmp_lt_u64_e64 vcc, s[12:13], 57
	s_lshl_b32 s18, s14, 2
	v_cndmask_b32_e32 v2, 0, v32, vcc
	s_add_i32 s18, s18, 28
	v_and_b32_e32 v6, 0xffffff1f, v6
	s_and_b32 s18, s18, 0x1e0
	v_or_b32_e32 v2, v6, v2
	v_or_b32_e32 v6, s18, v2
	v_readfirstlane_b32 s18, v28
	v_readfirstlane_b32 s19, v29
	s_nop 4
	global_store_dwordx4 v35, v[6:9], s[18:19]
	global_store_dwordx4 v35, v[14:17], s[18:19] offset:16
	global_store_dwordx4 v35, v[18:21], s[18:19] offset:32
	;; [unrolled: 1-line block ×3, first 2 shown]
	s_and_saveexec_b64 s[18:19], s[4:5]
	s_cbranch_execz .LBB1_215
; %bb.208:                              ;   in Loop: Header=BB1_143 Depth=1
	global_load_dwordx2 v[16:17], v3, s[10:11] offset:32 glc
	global_load_dwordx2 v[6:7], v3, s[10:11] offset:40
	v_mov_b32_e32 v14, s16
	v_mov_b32_e32 v15, s17
	s_waitcnt vmcnt(0)
	v_readfirstlane_b32 s20, v6
	v_readfirstlane_b32 s21, v7
	s_and_b64 s[20:21], s[20:21], s[16:17]
	s_mul_i32 s21, s21, 24
	s_mul_hi_u32 s22, s20, 24
	s_mul_i32 s20, s20, 24
	s_add_i32 s21, s22, s21
	v_mov_b32_e32 v2, s21
	v_add_co_u32_e32 v10, vcc, s20, v26
	v_addc_co_u32_e32 v11, vcc, v27, v2, vcc
	global_store_dwordx2 v[10:11], v[16:17], off
	s_waitcnt vmcnt(0)
	global_atomic_cmpswap_x2 v[8:9], v3, v[14:17], s[10:11] offset:32 glc
	s_waitcnt vmcnt(0)
	v_cmp_ne_u64_e32 vcc, v[8:9], v[16:17]
	s_and_saveexec_b64 s[20:21], vcc
	s_cbranch_execz .LBB1_211
; %bb.209:                              ;   in Loop: Header=BB1_143 Depth=1
	s_mov_b64 s[22:23], 0
.LBB1_210:                              ;   Parent Loop BB1_143 Depth=1
                                        ; =>  This Inner Loop Header: Depth=2
	s_sleep 1
	global_store_dwordx2 v[10:11], v[8:9], off
	v_mov_b32_e32 v6, s16
	v_mov_b32_e32 v7, s17
	s_waitcnt vmcnt(0)
	global_atomic_cmpswap_x2 v[6:7], v3, v[6:9], s[10:11] offset:32 glc
	s_waitcnt vmcnt(0)
	v_cmp_eq_u64_e32 vcc, v[6:7], v[8:9]
	v_mov_b32_e32 v9, v7
	s_or_b64 s[22:23], vcc, s[22:23]
	v_mov_b32_e32 v8, v6
	s_andn2_b64 exec, exec, s[22:23]
	s_cbranch_execnz .LBB1_210
.LBB1_211:                              ;   in Loop: Header=BB1_143 Depth=1
	s_or_b64 exec, exec, s[20:21]
	global_load_dwordx2 v[6:7], v3, s[10:11] offset:16
	s_mov_b64 s[22:23], exec
	v_mbcnt_lo_u32_b32 v2, s22, 0
	v_mbcnt_hi_u32_b32 v2, s23, v2
	v_cmp_eq_u32_e32 vcc, 0, v2
	s_and_saveexec_b64 s[20:21], vcc
	s_cbranch_execz .LBB1_213
; %bb.212:                              ;   in Loop: Header=BB1_143 Depth=1
	s_bcnt1_i32_b64 s22, s[22:23]
	v_mov_b32_e32 v2, s22
	s_waitcnt vmcnt(0)
	global_atomic_add_x2 v[6:7], v[2:3], off offset:8
.LBB1_213:                              ;   in Loop: Header=BB1_143 Depth=1
	s_or_b64 exec, exec, s[20:21]
	s_waitcnt vmcnt(0)
	global_load_dwordx2 v[8:9], v[6:7], off offset:16
	s_waitcnt vmcnt(0)
	v_cmp_eq_u64_e32 vcc, 0, v[8:9]
	s_cbranch_vccnz .LBB1_215
; %bb.214:                              ;   in Loop: Header=BB1_143 Depth=1
	global_load_dword v2, v[6:7], off offset:24
	s_waitcnt vmcnt(0)
	v_readfirstlane_b32 s20, v2
	s_and_b32 m0, s20, 0xffffff
	global_store_dwordx2 v[8:9], v[2:3], off
	s_sendmsg sendmsg(MSG_INTERRUPT)
.LBB1_215:                              ;   in Loop: Header=BB1_143 Depth=1
	s_or_b64 exec, exec, s[18:19]
	v_add_co_u32_e32 v6, vcc, v28, v35
	v_addc_co_u32_e32 v7, vcc, 0, v29, vcc
	s_branch .LBB1_219
.LBB1_216:                              ;   in Loop: Header=BB1_219 Depth=2
	s_or_b64 exec, exec, s[18:19]
	v_readfirstlane_b32 s18, v2
	s_cmp_eq_u32 s18, 0
	s_cbranch_scc1 .LBB1_218
; %bb.217:                              ;   in Loop: Header=BB1_219 Depth=2
	s_sleep 1
	s_cbranch_execnz .LBB1_219
	s_branch .LBB1_221
.LBB1_218:                              ;   in Loop: Header=BB1_143 Depth=1
	s_branch .LBB1_221
.LBB1_219:                              ;   Parent Loop BB1_143 Depth=1
                                        ; =>  This Inner Loop Header: Depth=2
	v_mov_b32_e32 v2, 1
	s_and_saveexec_b64 s[18:19], s[4:5]
	s_cbranch_execz .LBB1_216
; %bb.220:                              ;   in Loop: Header=BB1_219 Depth=2
	global_load_dword v2, v[30:31], off offset:20 glc
	s_waitcnt vmcnt(0)
	buffer_wbinvl1_vol
	v_and_b32_e32 v2, 1, v2
	s_branch .LBB1_216
.LBB1_221:                              ;   in Loop: Header=BB1_143 Depth=1
	global_load_dwordx2 v[6:7], v[6:7], off
	s_and_saveexec_b64 s[18:19], s[4:5]
	s_cbranch_execz .LBB1_142
; %bb.222:                              ;   in Loop: Header=BB1_143 Depth=1
	global_load_dwordx2 v[8:9], v3, s[10:11] offset:40
	global_load_dwordx2 v[18:19], v3, s[10:11] offset:24 glc
	global_load_dwordx2 v[10:11], v3, s[10:11]
	s_waitcnt vmcnt(2)
	v_readfirstlane_b32 s20, v8
	v_readfirstlane_b32 s21, v9
	s_add_u32 s22, s20, 1
	s_addc_u32 s23, s21, 0
	s_add_u32 s4, s22, s16
	s_addc_u32 s5, s23, s17
	s_cmp_eq_u64 s[4:5], 0
	s_cselect_b32 s5, s23, s5
	s_cselect_b32 s4, s22, s4
	s_and_b64 s[16:17], s[4:5], s[20:21]
	s_mul_i32 s17, s17, 24
	s_mul_hi_u32 s20, s16, 24
	s_mul_i32 s16, s16, 24
	s_add_i32 s17, s20, s17
	v_mov_b32_e32 v2, s17
	s_waitcnt vmcnt(0)
	v_add_co_u32_e32 v14, vcc, s16, v10
	v_addc_co_u32_e32 v15, vcc, v11, v2, vcc
	v_mov_b32_e32 v16, s4
	global_store_dwordx2 v[14:15], v[18:19], off
	v_mov_b32_e32 v17, s5
	s_waitcnt vmcnt(0)
	global_atomic_cmpswap_x2 v[10:11], v3, v[16:19], s[10:11] offset:24 glc
	s_waitcnt vmcnt(0)
	v_cmp_ne_u64_e32 vcc, v[10:11], v[18:19]
	s_and_b64 exec, exec, vcc
	s_cbranch_execz .LBB1_142
; %bb.223:                              ;   in Loop: Header=BB1_143 Depth=1
	s_mov_b64 s[16:17], 0
.LBB1_224:                              ;   Parent Loop BB1_143 Depth=1
                                        ; =>  This Inner Loop Header: Depth=2
	s_sleep 1
	global_store_dwordx2 v[14:15], v[10:11], off
	v_mov_b32_e32 v8, s4
	v_mov_b32_e32 v9, s5
	s_waitcnt vmcnt(0)
	global_atomic_cmpswap_x2 v[8:9], v3, v[8:11], s[10:11] offset:24 glc
	s_waitcnt vmcnt(0)
	v_cmp_eq_u64_e32 vcc, v[8:9], v[10:11]
	v_mov_b32_e32 v11, v9
	s_or_b64 s[16:17], vcc, s[16:17]
	v_mov_b32_e32 v10, v8
	s_andn2_b64 exec, exec, s[16:17]
	s_cbranch_execnz .LBB1_224
	s_branch .LBB1_142
.LBB1_225:
                                        ; implicit-def: $vgpr6_vgpr7
	s_cbranch_execnz .LBB1_227
	s_branch .LBB1_253
.LBB1_226:
	s_branch .LBB1_253
.LBB1_227:
	v_readfirstlane_b32 s4, v34
	v_mov_b32_e32 v10, 0
	v_mov_b32_e32 v11, 0
	v_cmp_eq_u32_e64 s[4:5], s4, v34
	s_and_saveexec_b64 s[6:7], s[4:5]
	s_cbranch_execz .LBB1_233
; %bb.228:
	v_mov_b32_e32 v2, 0
	global_load_dwordx2 v[8:9], v2, s[10:11] offset:24 glc
	s_waitcnt vmcnt(0)
	buffer_wbinvl1_vol
	global_load_dwordx2 v[6:7], v2, s[10:11] offset:40
	global_load_dwordx2 v[10:11], v2, s[10:11]
	s_waitcnt vmcnt(1)
	v_and_b32_e32 v3, v6, v8
	v_and_b32_e32 v6, v7, v9
	v_mul_lo_u32 v6, v6, 24
	v_mul_hi_u32 v7, v3, 24
	v_mul_lo_u32 v3, v3, 24
	v_add_u32_e32 v7, v7, v6
	s_waitcnt vmcnt(0)
	v_add_co_u32_e32 v6, vcc, v10, v3
	v_addc_co_u32_e32 v7, vcc, v11, v7, vcc
	global_load_dwordx2 v[6:7], v[6:7], off glc
	s_waitcnt vmcnt(0)
	global_atomic_cmpswap_x2 v[10:11], v2, v[6:9], s[10:11] offset:24 glc
	s_waitcnt vmcnt(0)
	buffer_wbinvl1_vol
	v_cmp_ne_u64_e32 vcc, v[10:11], v[8:9]
	s_and_saveexec_b64 s[12:13], vcc
	s_cbranch_execz .LBB1_232
; %bb.229:
	s_mov_b64 s[14:15], 0
.LBB1_230:                              ; =>This Inner Loop Header: Depth=1
	s_sleep 1
	global_load_dwordx2 v[6:7], v2, s[10:11] offset:40
	global_load_dwordx2 v[12:13], v2, s[10:11]
	v_mov_b32_e32 v8, v10
	v_mov_b32_e32 v9, v11
	s_waitcnt vmcnt(1)
	v_and_b32_e32 v3, v6, v8
	s_waitcnt vmcnt(0)
	v_mad_u64_u32 v[10:11], s[16:17], v3, 24, v[12:13]
	v_and_b32_e32 v6, v7, v9
	v_mov_b32_e32 v3, v11
	v_mad_u64_u32 v[6:7], s[16:17], v6, 24, v[3:4]
	v_mov_b32_e32 v11, v6
	global_load_dwordx2 v[6:7], v[10:11], off glc
	s_waitcnt vmcnt(0)
	global_atomic_cmpswap_x2 v[10:11], v2, v[6:9], s[10:11] offset:24 glc
	s_waitcnt vmcnt(0)
	buffer_wbinvl1_vol
	v_cmp_eq_u64_e32 vcc, v[10:11], v[8:9]
	s_or_b64 s[14:15], vcc, s[14:15]
	s_andn2_b64 exec, exec, s[14:15]
	s_cbranch_execnz .LBB1_230
; %bb.231:
	s_or_b64 exec, exec, s[14:15]
.LBB1_232:
	s_or_b64 exec, exec, s[12:13]
.LBB1_233:
	s_or_b64 exec, exec, s[6:7]
	v_mov_b32_e32 v2, 0
	global_load_dwordx2 v[12:13], v2, s[10:11] offset:40
	global_load_dwordx4 v[6:9], v2, s[10:11]
	v_readfirstlane_b32 s7, v11
	v_readfirstlane_b32 s6, v10
	s_mov_b64 s[12:13], exec
	s_waitcnt vmcnt(1)
	v_readfirstlane_b32 s14, v12
	v_readfirstlane_b32 s15, v13
	s_and_b64 s[14:15], s[14:15], s[6:7]
	s_mul_i32 s16, s15, 24
	s_mul_hi_u32 s17, s14, 24
	s_mul_i32 s18, s14, 24
	s_add_i32 s16, s17, s16
	v_mov_b32_e32 v3, s16
	s_waitcnt vmcnt(0)
	v_add_co_u32_e32 v10, vcc, s18, v6
	v_addc_co_u32_e32 v11, vcc, v7, v3, vcc
	s_and_saveexec_b64 s[16:17], s[4:5]
	s_cbranch_execz .LBB1_235
; %bb.234:
	v_mov_b32_e32 v12, s12
	v_mov_b32_e32 v13, s13
	v_mov_b32_e32 v14, 2
	v_mov_b32_e32 v15, 1
	global_store_dwordx4 v[10:11], v[12:15], off offset:8
.LBB1_235:
	s_or_b64 exec, exec, s[16:17]
	s_lshl_b64 s[12:13], s[14:15], 12
	v_mov_b32_e32 v3, s13
	v_add_co_u32_e32 v12, vcc, s12, v8
	v_addc_co_u32_e32 v13, vcc, v9, v3, vcc
	s_movk_i32 s12, 0xff1f
	v_and_or_b32 v0, v0, s12, 32
	s_mov_b32 s12, 0
	v_mov_b32_e32 v3, v2
	v_readfirstlane_b32 s16, v12
	v_readfirstlane_b32 s17, v13
	v_add_co_u32_e32 v8, vcc, v12, v35
	s_mov_b32 s13, s12
	s_mov_b32 s14, s12
	;; [unrolled: 1-line block ×3, first 2 shown]
	s_nop 0
	global_store_dwordx4 v35, v[0:3], s[16:17]
	v_addc_co_u32_e32 v9, vcc, 0, v13, vcc
	v_mov_b32_e32 v0, s12
	v_mov_b32_e32 v1, s13
	;; [unrolled: 1-line block ×4, first 2 shown]
	global_store_dwordx4 v35, v[0:3], s[16:17] offset:16
	global_store_dwordx4 v35, v[0:3], s[16:17] offset:32
	;; [unrolled: 1-line block ×3, first 2 shown]
	s_and_saveexec_b64 s[12:13], s[4:5]
	s_cbranch_execz .LBB1_243
; %bb.236:
	v_mov_b32_e32 v12, 0
	global_load_dwordx2 v[15:16], v12, s[10:11] offset:32 glc
	global_load_dwordx2 v[0:1], v12, s[10:11] offset:40
	v_mov_b32_e32 v13, s6
	v_mov_b32_e32 v14, s7
	s_waitcnt vmcnt(0)
	v_readfirstlane_b32 s14, v0
	v_readfirstlane_b32 s15, v1
	s_and_b64 s[14:15], s[14:15], s[6:7]
	s_mul_i32 s15, s15, 24
	s_mul_hi_u32 s16, s14, 24
	s_mul_i32 s14, s14, 24
	s_add_i32 s15, s16, s15
	v_mov_b32_e32 v0, s15
	v_add_co_u32_e32 v6, vcc, s14, v6
	v_addc_co_u32_e32 v7, vcc, v7, v0, vcc
	global_store_dwordx2 v[6:7], v[15:16], off
	s_waitcnt vmcnt(0)
	global_atomic_cmpswap_x2 v[2:3], v12, v[13:16], s[10:11] offset:32 glc
	s_waitcnt vmcnt(0)
	v_cmp_ne_u64_e32 vcc, v[2:3], v[15:16]
	s_and_saveexec_b64 s[14:15], vcc
	s_cbranch_execz .LBB1_239
; %bb.237:
	s_mov_b64 s[16:17], 0
.LBB1_238:                              ; =>This Inner Loop Header: Depth=1
	s_sleep 1
	global_store_dwordx2 v[6:7], v[2:3], off
	v_mov_b32_e32 v0, s6
	v_mov_b32_e32 v1, s7
	s_waitcnt vmcnt(0)
	global_atomic_cmpswap_x2 v[0:1], v12, v[0:3], s[10:11] offset:32 glc
	s_waitcnt vmcnt(0)
	v_cmp_eq_u64_e32 vcc, v[0:1], v[2:3]
	v_mov_b32_e32 v3, v1
	s_or_b64 s[16:17], vcc, s[16:17]
	v_mov_b32_e32 v2, v0
	s_andn2_b64 exec, exec, s[16:17]
	s_cbranch_execnz .LBB1_238
.LBB1_239:
	s_or_b64 exec, exec, s[14:15]
	v_mov_b32_e32 v3, 0
	global_load_dwordx2 v[0:1], v3, s[10:11] offset:16
	s_mov_b64 s[14:15], exec
	v_mbcnt_lo_u32_b32 v2, s14, 0
	v_mbcnt_hi_u32_b32 v2, s15, v2
	v_cmp_eq_u32_e32 vcc, 0, v2
	s_and_saveexec_b64 s[16:17], vcc
	s_cbranch_execz .LBB1_241
; %bb.240:
	s_bcnt1_i32_b64 s14, s[14:15]
	v_mov_b32_e32 v2, s14
	s_waitcnt vmcnt(0)
	global_atomic_add_x2 v[0:1], v[2:3], off offset:8
.LBB1_241:
	s_or_b64 exec, exec, s[16:17]
	s_waitcnt vmcnt(0)
	global_load_dwordx2 v[2:3], v[0:1], off offset:16
	s_waitcnt vmcnt(0)
	v_cmp_eq_u64_e32 vcc, 0, v[2:3]
	s_cbranch_vccnz .LBB1_243
; %bb.242:
	global_load_dword v0, v[0:1], off offset:24
	v_mov_b32_e32 v1, 0
	s_waitcnt vmcnt(0)
	v_readfirstlane_b32 s14, v0
	s_and_b32 m0, s14, 0xffffff
	global_store_dwordx2 v[2:3], v[0:1], off
	s_sendmsg sendmsg(MSG_INTERRUPT)
.LBB1_243:
	s_or_b64 exec, exec, s[12:13]
	s_branch .LBB1_247
.LBB1_244:                              ;   in Loop: Header=BB1_247 Depth=1
	s_or_b64 exec, exec, s[12:13]
	v_readfirstlane_b32 s12, v0
	s_cmp_eq_u32 s12, 0
	s_cbranch_scc1 .LBB1_246
; %bb.245:                              ;   in Loop: Header=BB1_247 Depth=1
	s_sleep 1
	s_cbranch_execnz .LBB1_247
	s_branch .LBB1_249
.LBB1_246:
	s_branch .LBB1_249
.LBB1_247:                              ; =>This Inner Loop Header: Depth=1
	v_mov_b32_e32 v0, 1
	s_and_saveexec_b64 s[12:13], s[4:5]
	s_cbranch_execz .LBB1_244
; %bb.248:                              ;   in Loop: Header=BB1_247 Depth=1
	global_load_dword v0, v[10:11], off offset:20 glc
	s_waitcnt vmcnt(0)
	buffer_wbinvl1_vol
	v_and_b32_e32 v0, 1, v0
	s_branch .LBB1_244
.LBB1_249:
	global_load_dwordx2 v[6:7], v[8:9], off
	s_and_saveexec_b64 s[12:13], s[4:5]
	s_cbranch_execz .LBB1_252
; %bb.250:
	v_mov_b32_e32 v10, 0
	global_load_dwordx2 v[0:1], v10, s[10:11] offset:40
	global_load_dwordx2 v[13:14], v10, s[10:11] offset:24 glc
	global_load_dwordx2 v[2:3], v10, s[10:11]
	s_waitcnt vmcnt(2)
	v_readfirstlane_b32 s14, v0
	v_readfirstlane_b32 s15, v1
	s_add_u32 s16, s14, 1
	s_addc_u32 s17, s15, 0
	s_add_u32 s4, s16, s6
	s_addc_u32 s5, s17, s7
	s_cmp_eq_u64 s[4:5], 0
	s_cselect_b32 s5, s17, s5
	s_cselect_b32 s4, s16, s4
	s_and_b64 s[6:7], s[4:5], s[14:15]
	s_mul_i32 s7, s7, 24
	s_mul_hi_u32 s14, s6, 24
	s_mul_i32 s6, s6, 24
	s_add_i32 s7, s14, s7
	v_mov_b32_e32 v0, s7
	s_waitcnt vmcnt(0)
	v_add_co_u32_e32 v8, vcc, s6, v2
	v_addc_co_u32_e32 v9, vcc, v3, v0, vcc
	v_mov_b32_e32 v11, s4
	global_store_dwordx2 v[8:9], v[13:14], off
	v_mov_b32_e32 v12, s5
	s_waitcnt vmcnt(0)
	global_atomic_cmpswap_x2 v[2:3], v10, v[11:14], s[10:11] offset:24 glc
	s_mov_b64 s[6:7], 0
	s_waitcnt vmcnt(0)
	v_cmp_ne_u64_e32 vcc, v[2:3], v[13:14]
	s_and_b64 exec, exec, vcc
	s_cbranch_execz .LBB1_252
.LBB1_251:                              ; =>This Inner Loop Header: Depth=1
	s_sleep 1
	global_store_dwordx2 v[8:9], v[2:3], off
	v_mov_b32_e32 v0, s4
	v_mov_b32_e32 v1, s5
	s_waitcnt vmcnt(0)
	global_atomic_cmpswap_x2 v[0:1], v10, v[0:3], s[10:11] offset:24 glc
	s_waitcnt vmcnt(0)
	v_cmp_eq_u64_e32 vcc, v[0:1], v[2:3]
	v_mov_b32_e32 v3, v1
	s_or_b64 s[6:7], vcc, s[6:7]
	v_mov_b32_e32 v2, v0
	s_andn2_b64 exec, exec, s[6:7]
	s_cbranch_execnz .LBB1_251
.LBB1_252:
	s_or_b64 exec, exec, s[12:13]
.LBB1_253:
	v_readfirstlane_b32 s4, v34
	v_mov_b32_e32 v10, 0
	v_mov_b32_e32 v11, 0
	v_cmp_eq_u32_e64 s[4:5], s4, v34
	s_and_saveexec_b64 s[6:7], s[4:5]
	s_cbranch_execz .LBB1_259
; %bb.254:
	s_waitcnt vmcnt(0)
	v_mov_b32_e32 v0, 0
	global_load_dwordx2 v[12:13], v0, s[10:11] offset:24 glc
	s_waitcnt vmcnt(0)
	buffer_wbinvl1_vol
	global_load_dwordx2 v[1:2], v0, s[10:11] offset:40
	global_load_dwordx2 v[8:9], v0, s[10:11]
	s_waitcnt vmcnt(1)
	v_and_b32_e32 v1, v1, v12
	v_and_b32_e32 v2, v2, v13
	v_mul_lo_u32 v2, v2, 24
	v_mul_hi_u32 v3, v1, 24
	v_mul_lo_u32 v1, v1, 24
	v_add_u32_e32 v2, v3, v2
	s_waitcnt vmcnt(0)
	v_add_co_u32_e32 v1, vcc, v8, v1
	v_addc_co_u32_e32 v2, vcc, v9, v2, vcc
	global_load_dwordx2 v[10:11], v[1:2], off glc
	s_waitcnt vmcnt(0)
	global_atomic_cmpswap_x2 v[10:11], v0, v[10:13], s[10:11] offset:24 glc
	s_waitcnt vmcnt(0)
	buffer_wbinvl1_vol
	v_cmp_ne_u64_e32 vcc, v[10:11], v[12:13]
	s_and_saveexec_b64 s[12:13], vcc
	s_cbranch_execz .LBB1_258
; %bb.255:
	s_mov_b64 s[14:15], 0
.LBB1_256:                              ; =>This Inner Loop Header: Depth=1
	s_sleep 1
	global_load_dwordx2 v[1:2], v0, s[10:11] offset:40
	global_load_dwordx2 v[8:9], v0, s[10:11]
	v_mov_b32_e32 v13, v11
	v_mov_b32_e32 v12, v10
	s_waitcnt vmcnt(1)
	v_and_b32_e32 v1, v1, v12
	s_waitcnt vmcnt(0)
	v_mad_u64_u32 v[8:9], s[16:17], v1, 24, v[8:9]
	v_and_b32_e32 v2, v2, v13
	v_mov_b32_e32 v1, v9
	v_mad_u64_u32 v[1:2], s[16:17], v2, 24, v[1:2]
	v_mov_b32_e32 v9, v1
	global_load_dwordx2 v[10:11], v[8:9], off glc
	s_waitcnt vmcnt(0)
	global_atomic_cmpswap_x2 v[10:11], v0, v[10:13], s[10:11] offset:24 glc
	s_waitcnt vmcnt(0)
	buffer_wbinvl1_vol
	v_cmp_eq_u64_e32 vcc, v[10:11], v[12:13]
	s_or_b64 s[14:15], vcc, s[14:15]
	s_andn2_b64 exec, exec, s[14:15]
	s_cbranch_execnz .LBB1_256
; %bb.257:
	s_or_b64 exec, exec, s[14:15]
.LBB1_258:
	s_or_b64 exec, exec, s[12:13]
.LBB1_259:
	s_or_b64 exec, exec, s[6:7]
	v_mov_b32_e32 v9, 0
	global_load_dwordx2 v[12:13], v9, s[10:11] offset:40
	global_load_dwordx4 v[0:3], v9, s[10:11]
	v_readfirstlane_b32 s7, v11
	v_readfirstlane_b32 s6, v10
	s_mov_b64 s[12:13], exec
	s_waitcnt vmcnt(1)
	v_readfirstlane_b32 s14, v12
	v_readfirstlane_b32 s15, v13
	s_and_b64 s[14:15], s[14:15], s[6:7]
	s_mul_i32 s16, s15, 24
	s_mul_hi_u32 s17, s14, 24
	s_mul_i32 s18, s14, 24
	s_add_i32 s16, s17, s16
	v_mov_b32_e32 v8, s16
	s_waitcnt vmcnt(0)
	v_add_co_u32_e32 v10, vcc, s18, v0
	v_addc_co_u32_e32 v11, vcc, v1, v8, vcc
	s_and_saveexec_b64 s[16:17], s[4:5]
	s_cbranch_execz .LBB1_261
; %bb.260:
	v_mov_b32_e32 v12, s12
	v_mov_b32_e32 v13, s13
	v_mov_b32_e32 v14, 2
	v_mov_b32_e32 v15, 1
	global_store_dwordx4 v[10:11], v[12:15], off offset:8
.LBB1_261:
	s_or_b64 exec, exec, s[16:17]
	s_lshl_b64 s[12:13], s[14:15], 12
	v_mov_b32_e32 v8, s13
	v_add_co_u32_e32 v2, vcc, s12, v2
	v_addc_co_u32_e32 v3, vcc, v3, v8, vcc
	s_movk_i32 s12, 0xff1f
	v_and_or_b32 v6, v6, s12, 32
	s_mov_b32 s12, 0
	v_mov_b32_e32 v8, 0x331
	v_readfirstlane_b32 s16, v2
	v_readfirstlane_b32 s17, v3
	v_add_co_u32_e32 v12, vcc, v2, v35
	s_mov_b32 s13, s12
	s_mov_b32 s14, s12
	;; [unrolled: 1-line block ×3, first 2 shown]
	s_nop 0
	global_store_dwordx4 v35, v[6:9], s[16:17]
	v_addc_co_u32_e32 v13, vcc, 0, v3, vcc
	v_mov_b32_e32 v6, s12
	v_mov_b32_e32 v7, s13
	;; [unrolled: 1-line block ×4, first 2 shown]
	global_store_dwordx4 v35, v[6:9], s[16:17] offset:16
	global_store_dwordx4 v35, v[6:9], s[16:17] offset:32
	;; [unrolled: 1-line block ×3, first 2 shown]
	s_and_saveexec_b64 s[12:13], s[4:5]
	s_cbranch_execz .LBB1_269
; %bb.262:
	v_mov_b32_e32 v8, 0
	global_load_dwordx2 v[16:17], v8, s[10:11] offset:32 glc
	global_load_dwordx2 v[2:3], v8, s[10:11] offset:40
	v_mov_b32_e32 v14, s6
	v_mov_b32_e32 v15, s7
	s_waitcnt vmcnt(0)
	v_readfirstlane_b32 s14, v2
	v_readfirstlane_b32 s15, v3
	s_and_b64 s[14:15], s[14:15], s[6:7]
	s_mul_i32 s15, s15, 24
	s_mul_hi_u32 s16, s14, 24
	s_mul_i32 s14, s14, 24
	s_add_i32 s15, s16, s15
	v_mov_b32_e32 v2, s15
	v_add_co_u32_e32 v6, vcc, s14, v0
	v_addc_co_u32_e32 v7, vcc, v1, v2, vcc
	global_store_dwordx2 v[6:7], v[16:17], off
	s_waitcnt vmcnt(0)
	global_atomic_cmpswap_x2 v[2:3], v8, v[14:17], s[10:11] offset:32 glc
	s_waitcnt vmcnt(0)
	v_cmp_ne_u64_e32 vcc, v[2:3], v[16:17]
	s_and_saveexec_b64 s[14:15], vcc
	s_cbranch_execz .LBB1_265
; %bb.263:
	s_mov_b64 s[16:17], 0
.LBB1_264:                              ; =>This Inner Loop Header: Depth=1
	s_sleep 1
	global_store_dwordx2 v[6:7], v[2:3], off
	v_mov_b32_e32 v0, s6
	v_mov_b32_e32 v1, s7
	s_waitcnt vmcnt(0)
	global_atomic_cmpswap_x2 v[0:1], v8, v[0:3], s[10:11] offset:32 glc
	s_waitcnt vmcnt(0)
	v_cmp_eq_u64_e32 vcc, v[0:1], v[2:3]
	v_mov_b32_e32 v3, v1
	s_or_b64 s[16:17], vcc, s[16:17]
	v_mov_b32_e32 v2, v0
	s_andn2_b64 exec, exec, s[16:17]
	s_cbranch_execnz .LBB1_264
.LBB1_265:
	s_or_b64 exec, exec, s[14:15]
	v_mov_b32_e32 v3, 0
	global_load_dwordx2 v[0:1], v3, s[10:11] offset:16
	s_mov_b64 s[14:15], exec
	v_mbcnt_lo_u32_b32 v2, s14, 0
	v_mbcnt_hi_u32_b32 v2, s15, v2
	v_cmp_eq_u32_e32 vcc, 0, v2
	s_and_saveexec_b64 s[16:17], vcc
	s_cbranch_execz .LBB1_267
; %bb.266:
	s_bcnt1_i32_b64 s14, s[14:15]
	v_mov_b32_e32 v2, s14
	s_waitcnt vmcnt(0)
	global_atomic_add_x2 v[0:1], v[2:3], off offset:8
.LBB1_267:
	s_or_b64 exec, exec, s[16:17]
	s_waitcnt vmcnt(0)
	global_load_dwordx2 v[2:3], v[0:1], off offset:16
	s_waitcnt vmcnt(0)
	v_cmp_eq_u64_e32 vcc, 0, v[2:3]
	s_cbranch_vccnz .LBB1_269
; %bb.268:
	global_load_dword v0, v[0:1], off offset:24
	v_mov_b32_e32 v1, 0
	s_waitcnt vmcnt(0)
	v_readfirstlane_b32 s14, v0
	s_and_b32 m0, s14, 0xffffff
	global_store_dwordx2 v[2:3], v[0:1], off
	s_sendmsg sendmsg(MSG_INTERRUPT)
.LBB1_269:
	s_or_b64 exec, exec, s[12:13]
	s_branch .LBB1_273
.LBB1_270:                              ;   in Loop: Header=BB1_273 Depth=1
	s_or_b64 exec, exec, s[12:13]
	v_readfirstlane_b32 s12, v0
	s_cmp_eq_u32 s12, 0
	s_cbranch_scc1 .LBB1_272
; %bb.271:                              ;   in Loop: Header=BB1_273 Depth=1
	s_sleep 1
	s_cbranch_execnz .LBB1_273
	s_branch .LBB1_275
.LBB1_272:
	s_branch .LBB1_275
.LBB1_273:                              ; =>This Inner Loop Header: Depth=1
	v_mov_b32_e32 v0, 1
	s_and_saveexec_b64 s[12:13], s[4:5]
	s_cbranch_execz .LBB1_270
; %bb.274:                              ;   in Loop: Header=BB1_273 Depth=1
	global_load_dword v0, v[10:11], off offset:20 glc
	s_waitcnt vmcnt(0)
	buffer_wbinvl1_vol
	v_and_b32_e32 v0, 1, v0
	s_branch .LBB1_270
.LBB1_275:
	global_load_dwordx2 v[0:1], v[12:13], off
	s_and_saveexec_b64 s[12:13], s[4:5]
	s_cbranch_execz .LBB1_278
; %bb.276:
	v_mov_b32_e32 v10, 0
	global_load_dwordx2 v[2:3], v10, s[10:11] offset:40
	global_load_dwordx2 v[13:14], v10, s[10:11] offset:24 glc
	global_load_dwordx2 v[6:7], v10, s[10:11]
	s_waitcnt vmcnt(2)
	v_readfirstlane_b32 s14, v2
	v_readfirstlane_b32 s15, v3
	s_add_u32 s16, s14, 1
	s_addc_u32 s17, s15, 0
	s_add_u32 s4, s16, s6
	s_addc_u32 s5, s17, s7
	s_cmp_eq_u64 s[4:5], 0
	s_cselect_b32 s5, s17, s5
	s_cselect_b32 s4, s16, s4
	s_and_b64 s[6:7], s[4:5], s[14:15]
	s_mul_i32 s7, s7, 24
	s_mul_hi_u32 s14, s6, 24
	s_mul_i32 s6, s6, 24
	s_add_i32 s7, s14, s7
	v_mov_b32_e32 v3, s7
	s_waitcnt vmcnt(0)
	v_add_co_u32_e32 v2, vcc, s6, v6
	v_addc_co_u32_e32 v3, vcc, v7, v3, vcc
	v_mov_b32_e32 v11, s4
	global_store_dwordx2 v[2:3], v[13:14], off
	v_mov_b32_e32 v12, s5
	s_waitcnt vmcnt(0)
	global_atomic_cmpswap_x2 v[8:9], v10, v[11:14], s[10:11] offset:24 glc
	s_mov_b64 s[6:7], 0
	s_waitcnt vmcnt(0)
	v_cmp_ne_u64_e32 vcc, v[8:9], v[13:14]
	s_and_b64 exec, exec, vcc
	s_cbranch_execz .LBB1_278
.LBB1_277:                              ; =>This Inner Loop Header: Depth=1
	s_sleep 1
	global_store_dwordx2 v[2:3], v[8:9], off
	v_mov_b32_e32 v6, s4
	v_mov_b32_e32 v7, s5
	s_waitcnt vmcnt(0)
	global_atomic_cmpswap_x2 v[6:7], v10, v[6:9], s[10:11] offset:24 glc
	s_waitcnt vmcnt(0)
	v_cmp_eq_u64_e32 vcc, v[6:7], v[8:9]
	v_mov_b32_e32 v9, v7
	s_or_b64 s[6:7], vcc, s[6:7]
	v_mov_b32_e32 v8, v6
	s_andn2_b64 exec, exec, s[6:7]
	s_cbranch_execnz .LBB1_277
.LBB1_278:
	s_or_b64 exec, exec, s[12:13]
	v_mov_b32_e32 v7, v5
	s_mov_b64 s[4:5], 0
	v_mov_b32_e32 v6, v4
.LBB1_279:                              ; =>This Inner Loop Header: Depth=1
	global_load_ubyte v8, v[6:7], off
	v_add_co_u32_e32 v2, vcc, 1, v6
	v_addc_co_u32_e32 v3, vcc, 0, v7, vcc
	v_mov_b32_e32 v7, v3
	v_mov_b32_e32 v6, v2
	s_waitcnt vmcnt(0)
	v_cmp_eq_u16_e32 vcc, 0, v8
	s_or_b64 s[4:5], vcc, s[4:5]
	s_andn2_b64 exec, exec, s[4:5]
	s_cbranch_execnz .LBB1_279
; %bb.280:
	s_or_b64 exec, exec, s[4:5]
	v_cmp_ne_u64_e32 vcc, 0, v[4:5]
	s_mov_b64 s[12:13], 0
	s_and_saveexec_b64 s[4:5], vcc
	s_xor_b64 s[6:7], exec, s[4:5]
	s_cbranch_execz .LBB1_366
; %bb.281:
	v_sub_u32_e32 v26, v2, v4
	v_ashrrev_i32_e32 v27, 31, v26
	v_and_b32_e32 v36, 2, v0
	v_mov_b32_e32 v29, 0
	v_and_b32_e32 v0, -3, v0
	s_mov_b32 s22, 0
	s_movk_i32 s23, 0x1e0
	v_mov_b32_e32 v8, 2
	v_mov_b32_e32 v9, 1
	s_branch .LBB1_283
.LBB1_282:                              ;   in Loop: Header=BB1_283 Depth=1
	s_or_b64 exec, exec, s[16:17]
	v_sub_co_u32_e32 v26, vcc, v26, v30
	v_subb_co_u32_e32 v27, vcc, v27, v31, vcc
	v_cmp_eq_u64_e32 vcc, 0, v[26:27]
	s_or_b64 s[12:13], vcc, s[12:13]
	v_add_co_u32_e32 v4, vcc, v4, v30
	v_addc_co_u32_e32 v5, vcc, v5, v31, vcc
	s_andn2_b64 exec, exec, s[12:13]
	s_cbranch_execz .LBB1_365
.LBB1_283:                              ; =>This Loop Header: Depth=1
                                        ;     Child Loop BB1_286 Depth 2
                                        ;     Child Loop BB1_294 Depth 2
	;; [unrolled: 1-line block ×11, first 2 shown]
	v_cmp_gt_u64_e32 vcc, 56, v[26:27]
	v_add_co_u32_e64 v12, s[4:5], 8, v4
	v_cndmask_b32_e32 v31, 0, v27, vcc
	v_cndmask_b32_e32 v30, 56, v26, vcc
	v_cmp_gt_u64_e32 vcc, 8, v[26:27]
	v_addc_co_u32_e64 v13, s[4:5], 0, v5, s[4:5]
	s_and_saveexec_b64 s[4:5], vcc
	s_xor_b64 s[4:5], exec, s[4:5]
	s_cbranch_execz .LBB1_289
; %bb.284:                              ;   in Loop: Header=BB1_283 Depth=1
	v_mov_b32_e32 v2, 0
	v_cmp_ne_u64_e32 vcc, 0, v[26:27]
	v_mov_b32_e32 v3, 0
	s_and_saveexec_b64 s[14:15], vcc
	s_cbranch_execz .LBB1_288
; %bb.285:                              ;   in Loop: Header=BB1_283 Depth=1
	v_lshlrev_b64 v[6:7], 3, v[30:31]
	v_mov_b32_e32 v2, 0
	v_mov_b32_e32 v11, v5
	s_mov_b64 s[16:17], 0
	v_mov_b32_e32 v3, 0
	v_mov_b32_e32 v10, v4
	s_mov_b64 s[18:19], 0
.LBB1_286:                              ;   Parent Loop BB1_283 Depth=1
                                        ; =>  This Inner Loop Header: Depth=2
	global_load_ubyte v7, v[10:11], off
	v_mov_b32_e32 v13, s22
	v_add_co_u32_e32 v10, vcc, 1, v10
	v_addc_co_u32_e32 v11, vcc, 0, v11, vcc
	s_waitcnt vmcnt(0)
	v_and_b32_e32 v12, 0xffff, v7
	v_lshlrev_b64 v[12:13], s18, v[12:13]
	s_add_u32 s18, s18, 8
	s_addc_u32 s19, s19, 0
	v_cmp_eq_u32_e32 vcc, s18, v6
	v_or_b32_e32 v3, v13, v3
	s_or_b64 s[16:17], vcc, s[16:17]
	v_or_b32_e32 v2, v12, v2
	s_andn2_b64 exec, exec, s[16:17]
	s_cbranch_execnz .LBB1_286
; %bb.287:                              ;   in Loop: Header=BB1_283 Depth=1
	s_or_b64 exec, exec, s[16:17]
.LBB1_288:                              ;   in Loop: Header=BB1_283 Depth=1
	s_or_b64 exec, exec, s[14:15]
	v_mov_b32_e32 v13, v5
	v_mov_b32_e32 v12, v4
.LBB1_289:                              ;   in Loop: Header=BB1_283 Depth=1
	s_or_saveexec_b64 s[4:5], s[4:5]
	v_mov_b32_e32 v14, 0
	s_xor_b64 exec, exec, s[4:5]
	s_cbranch_execz .LBB1_291
; %bb.290:                              ;   in Loop: Header=BB1_283 Depth=1
	global_load_dwordx2 v[2:3], v[4:5], off
	v_add_u32_e32 v14, -8, v30
.LBB1_291:                              ;   in Loop: Header=BB1_283 Depth=1
	s_or_b64 exec, exec, s[4:5]
	v_add_co_u32_e64 v6, s[4:5], 8, v12
	v_cmp_gt_u32_e32 vcc, 8, v14
	v_addc_co_u32_e64 v7, s[4:5], 0, v13, s[4:5]
                                        ; implicit-def: $vgpr10_vgpr11
	s_and_saveexec_b64 s[4:5], vcc
	s_xor_b64 s[4:5], exec, s[4:5]
	s_cbranch_execz .LBB1_297
; %bb.292:                              ;   in Loop: Header=BB1_283 Depth=1
	v_mov_b32_e32 v10, 0
	v_mov_b32_e32 v11, 0
	v_cmp_ne_u32_e32 vcc, 0, v14
	s_and_saveexec_b64 s[14:15], vcc
	s_cbranch_execz .LBB1_296
; %bb.293:                              ;   in Loop: Header=BB1_283 Depth=1
	v_mov_b32_e32 v10, 0
	s_mov_b64 s[16:17], 0
	v_mov_b32_e32 v11, 0
	s_mov_b64 s[18:19], 0
	s_mov_b64 s[20:21], 0
.LBB1_294:                              ;   Parent Loop BB1_283 Depth=1
                                        ; =>  This Inner Loop Header: Depth=2
	v_mov_b32_e32 v7, s21
	v_add_co_u32_e32 v6, vcc, s20, v12
	v_addc_co_u32_e32 v7, vcc, v13, v7, vcc
	global_load_ubyte v6, v[6:7], off
	s_add_u32 s20, s20, 1
	v_mov_b32_e32 v7, s22
	s_addc_u32 s21, s21, 0
	v_cmp_eq_u32_e32 vcc, s20, v14
	s_waitcnt vmcnt(0)
	v_and_b32_e32 v6, 0xffff, v6
	v_lshlrev_b64 v[6:7], s18, v[6:7]
	s_add_u32 s18, s18, 8
	s_addc_u32 s19, s19, 0
	v_or_b32_e32 v11, v7, v11
	s_or_b64 s[16:17], vcc, s[16:17]
	v_or_b32_e32 v10, v6, v10
	s_andn2_b64 exec, exec, s[16:17]
	s_cbranch_execnz .LBB1_294
; %bb.295:                              ;   in Loop: Header=BB1_283 Depth=1
	s_or_b64 exec, exec, s[16:17]
.LBB1_296:                              ;   in Loop: Header=BB1_283 Depth=1
	s_or_b64 exec, exec, s[14:15]
	v_mov_b32_e32 v6, v12
	v_mov_b32_e32 v7, v13
                                        ; implicit-def: $vgpr14
.LBB1_297:                              ;   in Loop: Header=BB1_283 Depth=1
	s_or_saveexec_b64 s[4:5], s[4:5]
	v_mov_b32_e32 v15, 0
	s_xor_b64 exec, exec, s[4:5]
	s_cbranch_execz .LBB1_299
; %bb.298:                              ;   in Loop: Header=BB1_283 Depth=1
	global_load_dwordx2 v[10:11], v[12:13], off
	v_add_u32_e32 v15, -8, v14
.LBB1_299:                              ;   in Loop: Header=BB1_283 Depth=1
	s_or_b64 exec, exec, s[4:5]
	v_add_co_u32_e64 v16, s[4:5], 8, v6
	v_cmp_gt_u32_e32 vcc, 8, v15
	v_addc_co_u32_e64 v17, s[4:5], 0, v7, s[4:5]
	s_and_saveexec_b64 s[4:5], vcc
	s_xor_b64 s[4:5], exec, s[4:5]
	s_cbranch_execz .LBB1_305
; %bb.300:                              ;   in Loop: Header=BB1_283 Depth=1
	v_mov_b32_e32 v12, 0
	v_mov_b32_e32 v13, 0
	v_cmp_ne_u32_e32 vcc, 0, v15
	s_and_saveexec_b64 s[14:15], vcc
	s_cbranch_execz .LBB1_304
; %bb.301:                              ;   in Loop: Header=BB1_283 Depth=1
	v_mov_b32_e32 v12, 0
	s_mov_b64 s[16:17], 0
	v_mov_b32_e32 v13, 0
	s_mov_b64 s[18:19], 0
	s_mov_b64 s[20:21], 0
.LBB1_302:                              ;   Parent Loop BB1_283 Depth=1
                                        ; =>  This Inner Loop Header: Depth=2
	v_mov_b32_e32 v14, s21
	v_add_co_u32_e32 v16, vcc, s20, v6
	v_addc_co_u32_e32 v17, vcc, v7, v14, vcc
	global_load_ubyte v14, v[16:17], off
	s_add_u32 s20, s20, 1
	v_mov_b32_e32 v17, s22
	s_addc_u32 s21, s21, 0
	v_cmp_eq_u32_e32 vcc, s20, v15
	s_waitcnt vmcnt(0)
	v_and_b32_e32 v16, 0xffff, v14
	v_lshlrev_b64 v[16:17], s18, v[16:17]
	s_add_u32 s18, s18, 8
	s_addc_u32 s19, s19, 0
	v_or_b32_e32 v13, v17, v13
	s_or_b64 s[16:17], vcc, s[16:17]
	v_or_b32_e32 v12, v16, v12
	s_andn2_b64 exec, exec, s[16:17]
	s_cbranch_execnz .LBB1_302
; %bb.303:                              ;   in Loop: Header=BB1_283 Depth=1
	s_or_b64 exec, exec, s[16:17]
.LBB1_304:                              ;   in Loop: Header=BB1_283 Depth=1
	s_or_b64 exec, exec, s[14:15]
	v_mov_b32_e32 v17, v7
	v_mov_b32_e32 v16, v6
                                        ; implicit-def: $vgpr15
.LBB1_305:                              ;   in Loop: Header=BB1_283 Depth=1
	s_or_saveexec_b64 s[4:5], s[4:5]
	v_mov_b32_e32 v18, 0
	s_xor_b64 exec, exec, s[4:5]
	s_cbranch_execz .LBB1_307
; %bb.306:                              ;   in Loop: Header=BB1_283 Depth=1
	global_load_dwordx2 v[12:13], v[6:7], off
	v_add_u32_e32 v18, -8, v15
.LBB1_307:                              ;   in Loop: Header=BB1_283 Depth=1
	s_or_b64 exec, exec, s[4:5]
	v_add_co_u32_e64 v6, s[4:5], 8, v16
	v_cmp_gt_u32_e32 vcc, 8, v18
	v_addc_co_u32_e64 v7, s[4:5], 0, v17, s[4:5]
                                        ; implicit-def: $vgpr14_vgpr15
	s_and_saveexec_b64 s[4:5], vcc
	s_xor_b64 s[4:5], exec, s[4:5]
	s_cbranch_execz .LBB1_313
; %bb.308:                              ;   in Loop: Header=BB1_283 Depth=1
	v_mov_b32_e32 v14, 0
	v_mov_b32_e32 v15, 0
	v_cmp_ne_u32_e32 vcc, 0, v18
	s_and_saveexec_b64 s[14:15], vcc
	s_cbranch_execz .LBB1_312
; %bb.309:                              ;   in Loop: Header=BB1_283 Depth=1
	v_mov_b32_e32 v14, 0
	s_mov_b64 s[16:17], 0
	v_mov_b32_e32 v15, 0
	s_mov_b64 s[18:19], 0
	s_mov_b64 s[20:21], 0
.LBB1_310:                              ;   Parent Loop BB1_283 Depth=1
                                        ; =>  This Inner Loop Header: Depth=2
	v_mov_b32_e32 v7, s21
	v_add_co_u32_e32 v6, vcc, s20, v16
	v_addc_co_u32_e32 v7, vcc, v17, v7, vcc
	global_load_ubyte v6, v[6:7], off
	s_add_u32 s20, s20, 1
	v_mov_b32_e32 v7, s22
	s_addc_u32 s21, s21, 0
	v_cmp_eq_u32_e32 vcc, s20, v18
	s_waitcnt vmcnt(0)
	v_and_b32_e32 v6, 0xffff, v6
	v_lshlrev_b64 v[6:7], s18, v[6:7]
	s_add_u32 s18, s18, 8
	s_addc_u32 s19, s19, 0
	v_or_b32_e32 v15, v7, v15
	s_or_b64 s[16:17], vcc, s[16:17]
	v_or_b32_e32 v14, v6, v14
	s_andn2_b64 exec, exec, s[16:17]
	s_cbranch_execnz .LBB1_310
; %bb.311:                              ;   in Loop: Header=BB1_283 Depth=1
	s_or_b64 exec, exec, s[16:17]
.LBB1_312:                              ;   in Loop: Header=BB1_283 Depth=1
	s_or_b64 exec, exec, s[14:15]
	v_mov_b32_e32 v6, v16
	v_mov_b32_e32 v7, v17
                                        ; implicit-def: $vgpr18
.LBB1_313:                              ;   in Loop: Header=BB1_283 Depth=1
	s_or_saveexec_b64 s[4:5], s[4:5]
	v_mov_b32_e32 v19, 0
	s_xor_b64 exec, exec, s[4:5]
	s_cbranch_execz .LBB1_315
; %bb.314:                              ;   in Loop: Header=BB1_283 Depth=1
	global_load_dwordx2 v[14:15], v[16:17], off
	v_add_u32_e32 v19, -8, v18
.LBB1_315:                              ;   in Loop: Header=BB1_283 Depth=1
	s_or_b64 exec, exec, s[4:5]
	v_add_co_u32_e64 v20, s[4:5], 8, v6
	v_cmp_gt_u32_e32 vcc, 8, v19
	v_addc_co_u32_e64 v21, s[4:5], 0, v7, s[4:5]
	s_and_saveexec_b64 s[4:5], vcc
	s_xor_b64 s[4:5], exec, s[4:5]
	s_cbranch_execz .LBB1_321
; %bb.316:                              ;   in Loop: Header=BB1_283 Depth=1
	v_mov_b32_e32 v16, 0
	v_mov_b32_e32 v17, 0
	v_cmp_ne_u32_e32 vcc, 0, v19
	s_and_saveexec_b64 s[14:15], vcc
	s_cbranch_execz .LBB1_320
; %bb.317:                              ;   in Loop: Header=BB1_283 Depth=1
	v_mov_b32_e32 v16, 0
	s_mov_b64 s[16:17], 0
	v_mov_b32_e32 v17, 0
	s_mov_b64 s[18:19], 0
	s_mov_b64 s[20:21], 0
.LBB1_318:                              ;   Parent Loop BB1_283 Depth=1
                                        ; =>  This Inner Loop Header: Depth=2
	v_mov_b32_e32 v18, s21
	v_add_co_u32_e32 v20, vcc, s20, v6
	v_addc_co_u32_e32 v21, vcc, v7, v18, vcc
	global_load_ubyte v18, v[20:21], off
	s_add_u32 s20, s20, 1
	v_mov_b32_e32 v21, s22
	s_addc_u32 s21, s21, 0
	v_cmp_eq_u32_e32 vcc, s20, v19
	s_waitcnt vmcnt(0)
	v_and_b32_e32 v20, 0xffff, v18
	v_lshlrev_b64 v[20:21], s18, v[20:21]
	s_add_u32 s18, s18, 8
	s_addc_u32 s19, s19, 0
	v_or_b32_e32 v17, v21, v17
	s_or_b64 s[16:17], vcc, s[16:17]
	v_or_b32_e32 v16, v20, v16
	s_andn2_b64 exec, exec, s[16:17]
	s_cbranch_execnz .LBB1_318
; %bb.319:                              ;   in Loop: Header=BB1_283 Depth=1
	s_or_b64 exec, exec, s[16:17]
.LBB1_320:                              ;   in Loop: Header=BB1_283 Depth=1
	s_or_b64 exec, exec, s[14:15]
	v_mov_b32_e32 v21, v7
	v_mov_b32_e32 v20, v6
                                        ; implicit-def: $vgpr19
.LBB1_321:                              ;   in Loop: Header=BB1_283 Depth=1
	s_or_saveexec_b64 s[4:5], s[4:5]
	v_mov_b32_e32 v22, 0
	s_xor_b64 exec, exec, s[4:5]
	s_cbranch_execz .LBB1_323
; %bb.322:                              ;   in Loop: Header=BB1_283 Depth=1
	global_load_dwordx2 v[16:17], v[6:7], off
	v_add_u32_e32 v22, -8, v19
.LBB1_323:                              ;   in Loop: Header=BB1_283 Depth=1
	s_or_b64 exec, exec, s[4:5]
	v_add_co_u32_e64 v6, s[4:5], 8, v20
	v_cmp_gt_u32_e32 vcc, 8, v22
	v_addc_co_u32_e64 v7, s[4:5], 0, v21, s[4:5]
                                        ; implicit-def: $vgpr18_vgpr19
	s_and_saveexec_b64 s[4:5], vcc
	s_xor_b64 s[4:5], exec, s[4:5]
	s_cbranch_execz .LBB1_329
; %bb.324:                              ;   in Loop: Header=BB1_283 Depth=1
	v_mov_b32_e32 v18, 0
	v_mov_b32_e32 v19, 0
	v_cmp_ne_u32_e32 vcc, 0, v22
	s_and_saveexec_b64 s[14:15], vcc
	s_cbranch_execz .LBB1_328
; %bb.325:                              ;   in Loop: Header=BB1_283 Depth=1
	v_mov_b32_e32 v18, 0
	s_mov_b64 s[16:17], 0
	v_mov_b32_e32 v19, 0
	s_mov_b64 s[18:19], 0
	s_mov_b64 s[20:21], 0
.LBB1_326:                              ;   Parent Loop BB1_283 Depth=1
                                        ; =>  This Inner Loop Header: Depth=2
	v_mov_b32_e32 v7, s21
	v_add_co_u32_e32 v6, vcc, s20, v20
	v_addc_co_u32_e32 v7, vcc, v21, v7, vcc
	global_load_ubyte v6, v[6:7], off
	s_add_u32 s20, s20, 1
	v_mov_b32_e32 v7, s22
	s_addc_u32 s21, s21, 0
	v_cmp_eq_u32_e32 vcc, s20, v22
	s_waitcnt vmcnt(0)
	v_and_b32_e32 v6, 0xffff, v6
	v_lshlrev_b64 v[6:7], s18, v[6:7]
	s_add_u32 s18, s18, 8
	s_addc_u32 s19, s19, 0
	v_or_b32_e32 v19, v7, v19
	s_or_b64 s[16:17], vcc, s[16:17]
	v_or_b32_e32 v18, v6, v18
	s_andn2_b64 exec, exec, s[16:17]
	s_cbranch_execnz .LBB1_326
; %bb.327:                              ;   in Loop: Header=BB1_283 Depth=1
	s_or_b64 exec, exec, s[16:17]
.LBB1_328:                              ;   in Loop: Header=BB1_283 Depth=1
	s_or_b64 exec, exec, s[14:15]
	v_mov_b32_e32 v6, v20
	v_mov_b32_e32 v7, v21
                                        ; implicit-def: $vgpr22
.LBB1_329:                              ;   in Loop: Header=BB1_283 Depth=1
	s_or_saveexec_b64 s[4:5], s[4:5]
	v_mov_b32_e32 v23, 0
	s_xor_b64 exec, exec, s[4:5]
	s_cbranch_execz .LBB1_331
; %bb.330:                              ;   in Loop: Header=BB1_283 Depth=1
	global_load_dwordx2 v[18:19], v[20:21], off
	v_add_u32_e32 v23, -8, v22
.LBB1_331:                              ;   in Loop: Header=BB1_283 Depth=1
	s_or_b64 exec, exec, s[4:5]
	v_cmp_gt_u32_e32 vcc, 8, v23
	s_and_saveexec_b64 s[4:5], vcc
	s_xor_b64 s[4:5], exec, s[4:5]
	s_cbranch_execz .LBB1_337
; %bb.332:                              ;   in Loop: Header=BB1_283 Depth=1
	v_mov_b32_e32 v20, 0
	v_mov_b32_e32 v21, 0
	v_cmp_ne_u32_e32 vcc, 0, v23
	s_and_saveexec_b64 s[14:15], vcc
	s_cbranch_execz .LBB1_336
; %bb.333:                              ;   in Loop: Header=BB1_283 Depth=1
	v_mov_b32_e32 v20, 0
	s_mov_b64 s[16:17], 0
	v_mov_b32_e32 v21, 0
	s_mov_b64 s[18:19], 0
.LBB1_334:                              ;   Parent Loop BB1_283 Depth=1
                                        ; =>  This Inner Loop Header: Depth=2
	global_load_ubyte v22, v[6:7], off
	v_mov_b32_e32 v25, s22
	v_add_co_u32_e32 v6, vcc, 1, v6
	v_add_u32_e32 v23, -1, v23
	v_addc_co_u32_e32 v7, vcc, 0, v7, vcc
	v_cmp_eq_u32_e32 vcc, 0, v23
	s_waitcnt vmcnt(0)
	v_and_b32_e32 v24, 0xffff, v22
	v_lshlrev_b64 v[24:25], s18, v[24:25]
	s_add_u32 s18, s18, 8
	s_addc_u32 s19, s19, 0
	v_or_b32_e32 v21, v25, v21
	s_or_b64 s[16:17], vcc, s[16:17]
	v_or_b32_e32 v20, v24, v20
	s_andn2_b64 exec, exec, s[16:17]
	s_cbranch_execnz .LBB1_334
; %bb.335:                              ;   in Loop: Header=BB1_283 Depth=1
	s_or_b64 exec, exec, s[16:17]
.LBB1_336:                              ;   in Loop: Header=BB1_283 Depth=1
	s_or_b64 exec, exec, s[14:15]
                                        ; implicit-def: $vgpr6_vgpr7
.LBB1_337:                              ;   in Loop: Header=BB1_283 Depth=1
	s_andn2_saveexec_b64 s[4:5], s[4:5]
	s_cbranch_execz .LBB1_339
; %bb.338:                              ;   in Loop: Header=BB1_283 Depth=1
	global_load_dwordx2 v[20:21], v[6:7], off
.LBB1_339:                              ;   in Loop: Header=BB1_283 Depth=1
	s_or_b64 exec, exec, s[4:5]
	v_readfirstlane_b32 s4, v34
	v_mov_b32_e32 v6, 0
	v_mov_b32_e32 v7, 0
	v_cmp_eq_u32_e64 s[4:5], s4, v34
	s_and_saveexec_b64 s[14:15], s[4:5]
	s_cbranch_execz .LBB1_345
; %bb.340:                              ;   in Loop: Header=BB1_283 Depth=1
	global_load_dwordx2 v[24:25], v29, s[10:11] offset:24 glc
	s_waitcnt vmcnt(0)
	buffer_wbinvl1_vol
	global_load_dwordx2 v[6:7], v29, s[10:11] offset:40
	global_load_dwordx2 v[22:23], v29, s[10:11]
	s_waitcnt vmcnt(1)
	v_and_b32_e32 v6, v6, v24
	v_and_b32_e32 v7, v7, v25
	v_mul_lo_u32 v7, v7, 24
	v_mul_hi_u32 v28, v6, 24
	v_mul_lo_u32 v6, v6, 24
	v_add_u32_e32 v7, v28, v7
	s_waitcnt vmcnt(0)
	v_add_co_u32_e32 v6, vcc, v22, v6
	v_addc_co_u32_e32 v7, vcc, v23, v7, vcc
	global_load_dwordx2 v[22:23], v[6:7], off glc
	s_waitcnt vmcnt(0)
	global_atomic_cmpswap_x2 v[6:7], v29, v[22:25], s[10:11] offset:24 glc
	s_waitcnt vmcnt(0)
	buffer_wbinvl1_vol
	v_cmp_ne_u64_e32 vcc, v[6:7], v[24:25]
	s_and_saveexec_b64 s[16:17], vcc
	s_cbranch_execz .LBB1_344
; %bb.341:                              ;   in Loop: Header=BB1_283 Depth=1
	s_mov_b64 s[18:19], 0
.LBB1_342:                              ;   Parent Loop BB1_283 Depth=1
                                        ; =>  This Inner Loop Header: Depth=2
	s_sleep 1
	global_load_dwordx2 v[22:23], v29, s[10:11] offset:40
	global_load_dwordx2 v[32:33], v29, s[10:11]
	v_mov_b32_e32 v25, v7
	v_mov_b32_e32 v24, v6
	s_waitcnt vmcnt(1)
	v_and_b32_e32 v6, v22, v24
	s_waitcnt vmcnt(0)
	v_mad_u64_u32 v[6:7], s[20:21], v6, 24, v[32:33]
	v_and_b32_e32 v22, v23, v25
	v_mad_u64_u32 v[22:23], s[20:21], v22, 24, v[7:8]
	v_mov_b32_e32 v7, v22
	global_load_dwordx2 v[22:23], v[6:7], off glc
	s_waitcnt vmcnt(0)
	global_atomic_cmpswap_x2 v[6:7], v29, v[22:25], s[10:11] offset:24 glc
	s_waitcnt vmcnt(0)
	buffer_wbinvl1_vol
	v_cmp_eq_u64_e32 vcc, v[6:7], v[24:25]
	s_or_b64 s[18:19], vcc, s[18:19]
	s_andn2_b64 exec, exec, s[18:19]
	s_cbranch_execnz .LBB1_342
; %bb.343:                              ;   in Loop: Header=BB1_283 Depth=1
	s_or_b64 exec, exec, s[18:19]
.LBB1_344:                              ;   in Loop: Header=BB1_283 Depth=1
	s_or_b64 exec, exec, s[16:17]
.LBB1_345:                              ;   in Loop: Header=BB1_283 Depth=1
	s_or_b64 exec, exec, s[14:15]
	global_load_dwordx2 v[32:33], v29, s[10:11] offset:40
	global_load_dwordx4 v[22:25], v29, s[10:11]
	v_readfirstlane_b32 s15, v7
	v_readfirstlane_b32 s14, v6
	s_mov_b64 s[16:17], exec
	s_waitcnt vmcnt(1)
	v_readfirstlane_b32 s18, v32
	v_readfirstlane_b32 s19, v33
	s_and_b64 s[18:19], s[18:19], s[14:15]
	s_mul_i32 s20, s19, 24
	s_mul_hi_u32 s21, s18, 24
	s_mul_i32 s24, s18, 24
	s_add_i32 s20, s21, s20
	v_mov_b32_e32 v6, s20
	s_waitcnt vmcnt(0)
	v_add_co_u32_e32 v32, vcc, s24, v22
	v_addc_co_u32_e32 v33, vcc, v23, v6, vcc
	s_and_saveexec_b64 s[20:21], s[4:5]
	s_cbranch_execz .LBB1_347
; %bb.346:                              ;   in Loop: Header=BB1_283 Depth=1
	v_mov_b32_e32 v6, s16
	v_mov_b32_e32 v7, s17
	global_store_dwordx4 v[32:33], v[6:9], off offset:8
.LBB1_347:                              ;   in Loop: Header=BB1_283 Depth=1
	s_or_b64 exec, exec, s[20:21]
	s_lshl_b64 s[16:17], s[18:19], 12
	v_mov_b32_e32 v6, s17
	v_add_co_u32_e32 v24, vcc, s16, v24
	v_addc_co_u32_e32 v25, vcc, v25, v6, vcc
	v_cmp_gt_u64_e32 vcc, 57, v[26:27]
	v_and_b32_e32 v0, 0xffffff1f, v0
	v_cndmask_b32_e32 v6, 0, v36, vcc
	v_lshl_add_u32 v7, v30, 2, 28
	v_or_b32_e32 v0, v0, v6
	v_and_or_b32 v0, v7, s23, v0
	v_readfirstlane_b32 s16, v24
	v_readfirstlane_b32 s17, v25
	s_nop 4
	global_store_dwordx4 v35, v[0:3], s[16:17]
	global_store_dwordx4 v35, v[10:13], s[16:17] offset:16
	global_store_dwordx4 v35, v[14:17], s[16:17] offset:32
	;; [unrolled: 1-line block ×3, first 2 shown]
	s_and_saveexec_b64 s[16:17], s[4:5]
	s_cbranch_execz .LBB1_355
; %bb.348:                              ;   in Loop: Header=BB1_283 Depth=1
	global_load_dwordx2 v[12:13], v29, s[10:11] offset:32 glc
	global_load_dwordx2 v[0:1], v29, s[10:11] offset:40
	v_mov_b32_e32 v10, s14
	v_mov_b32_e32 v11, s15
	s_waitcnt vmcnt(0)
	v_readfirstlane_b32 s18, v0
	v_readfirstlane_b32 s19, v1
	s_and_b64 s[18:19], s[18:19], s[14:15]
	s_mul_i32 s19, s19, 24
	s_mul_hi_u32 s20, s18, 24
	s_mul_i32 s18, s18, 24
	s_add_i32 s19, s20, s19
	v_mov_b32_e32 v0, s19
	v_add_co_u32_e32 v6, vcc, s18, v22
	v_addc_co_u32_e32 v7, vcc, v23, v0, vcc
	global_store_dwordx2 v[6:7], v[12:13], off
	s_waitcnt vmcnt(0)
	global_atomic_cmpswap_x2 v[2:3], v29, v[10:13], s[10:11] offset:32 glc
	s_waitcnt vmcnt(0)
	v_cmp_ne_u64_e32 vcc, v[2:3], v[12:13]
	s_and_saveexec_b64 s[18:19], vcc
	s_cbranch_execz .LBB1_351
; %bb.349:                              ;   in Loop: Header=BB1_283 Depth=1
	s_mov_b64 s[20:21], 0
.LBB1_350:                              ;   Parent Loop BB1_283 Depth=1
                                        ; =>  This Inner Loop Header: Depth=2
	s_sleep 1
	global_store_dwordx2 v[6:7], v[2:3], off
	v_mov_b32_e32 v0, s14
	v_mov_b32_e32 v1, s15
	s_waitcnt vmcnt(0)
	global_atomic_cmpswap_x2 v[0:1], v29, v[0:3], s[10:11] offset:32 glc
	s_waitcnt vmcnt(0)
	v_cmp_eq_u64_e32 vcc, v[0:1], v[2:3]
	v_mov_b32_e32 v3, v1
	s_or_b64 s[20:21], vcc, s[20:21]
	v_mov_b32_e32 v2, v0
	s_andn2_b64 exec, exec, s[20:21]
	s_cbranch_execnz .LBB1_350
.LBB1_351:                              ;   in Loop: Header=BB1_283 Depth=1
	s_or_b64 exec, exec, s[18:19]
	global_load_dwordx2 v[0:1], v29, s[10:11] offset:16
	s_mov_b64 s[20:21], exec
	v_mbcnt_lo_u32_b32 v2, s20, 0
	v_mbcnt_hi_u32_b32 v2, s21, v2
	v_cmp_eq_u32_e32 vcc, 0, v2
	s_and_saveexec_b64 s[18:19], vcc
	s_cbranch_execz .LBB1_353
; %bb.352:                              ;   in Loop: Header=BB1_283 Depth=1
	s_bcnt1_i32_b64 s20, s[20:21]
	v_mov_b32_e32 v28, s20
	s_waitcnt vmcnt(0)
	global_atomic_add_x2 v[0:1], v[28:29], off offset:8
.LBB1_353:                              ;   in Loop: Header=BB1_283 Depth=1
	s_or_b64 exec, exec, s[18:19]
	s_waitcnt vmcnt(0)
	global_load_dwordx2 v[2:3], v[0:1], off offset:16
	s_waitcnt vmcnt(0)
	v_cmp_eq_u64_e32 vcc, 0, v[2:3]
	s_cbranch_vccnz .LBB1_355
; %bb.354:                              ;   in Loop: Header=BB1_283 Depth=1
	global_load_dword v28, v[0:1], off offset:24
	s_waitcnt vmcnt(0)
	v_readfirstlane_b32 s18, v28
	s_and_b32 m0, s18, 0xffffff
	global_store_dwordx2 v[2:3], v[28:29], off
	s_sendmsg sendmsg(MSG_INTERRUPT)
.LBB1_355:                              ;   in Loop: Header=BB1_283 Depth=1
	s_or_b64 exec, exec, s[16:17]
	v_add_co_u32_e32 v0, vcc, v24, v35
	v_addc_co_u32_e32 v1, vcc, 0, v25, vcc
	s_branch .LBB1_359
.LBB1_356:                              ;   in Loop: Header=BB1_359 Depth=2
	s_or_b64 exec, exec, s[16:17]
	v_readfirstlane_b32 s16, v2
	s_cmp_eq_u32 s16, 0
	s_cbranch_scc1 .LBB1_358
; %bb.357:                              ;   in Loop: Header=BB1_359 Depth=2
	s_sleep 1
	s_cbranch_execnz .LBB1_359
	s_branch .LBB1_361
.LBB1_358:                              ;   in Loop: Header=BB1_283 Depth=1
	s_branch .LBB1_361
.LBB1_359:                              ;   Parent Loop BB1_283 Depth=1
                                        ; =>  This Inner Loop Header: Depth=2
	v_mov_b32_e32 v2, 1
	s_and_saveexec_b64 s[16:17], s[4:5]
	s_cbranch_execz .LBB1_356
; %bb.360:                              ;   in Loop: Header=BB1_359 Depth=2
	global_load_dword v2, v[32:33], off offset:20 glc
	s_waitcnt vmcnt(0)
	buffer_wbinvl1_vol
	v_and_b32_e32 v2, 1, v2
	s_branch .LBB1_356
.LBB1_361:                              ;   in Loop: Header=BB1_283 Depth=1
	global_load_dwordx2 v[0:1], v[0:1], off
	s_and_saveexec_b64 s[16:17], s[4:5]
	s_cbranch_execz .LBB1_282
; %bb.362:                              ;   in Loop: Header=BB1_283 Depth=1
	global_load_dwordx2 v[2:3], v29, s[10:11] offset:40
	global_load_dwordx2 v[14:15], v29, s[10:11] offset:24 glc
	global_load_dwordx2 v[6:7], v29, s[10:11]
	s_waitcnt vmcnt(2)
	v_readfirstlane_b32 s18, v2
	v_readfirstlane_b32 s19, v3
	s_add_u32 s20, s18, 1
	s_addc_u32 s21, s19, 0
	s_add_u32 s4, s20, s14
	s_addc_u32 s5, s21, s15
	s_cmp_eq_u64 s[4:5], 0
	s_cselect_b32 s5, s21, s5
	s_cselect_b32 s4, s20, s4
	s_and_b64 s[14:15], s[4:5], s[18:19]
	s_mul_i32 s15, s15, 24
	s_mul_hi_u32 s18, s14, 24
	s_mul_i32 s14, s14, 24
	s_add_i32 s15, s18, s15
	v_mov_b32_e32 v3, s15
	s_waitcnt vmcnt(0)
	v_add_co_u32_e32 v2, vcc, s14, v6
	v_addc_co_u32_e32 v3, vcc, v7, v3, vcc
	v_mov_b32_e32 v12, s4
	global_store_dwordx2 v[2:3], v[14:15], off
	v_mov_b32_e32 v13, s5
	s_waitcnt vmcnt(0)
	global_atomic_cmpswap_x2 v[12:13], v29, v[12:15], s[10:11] offset:24 glc
	s_waitcnt vmcnt(0)
	v_cmp_ne_u64_e32 vcc, v[12:13], v[14:15]
	s_and_b64 exec, exec, vcc
	s_cbranch_execz .LBB1_282
; %bb.363:                              ;   in Loop: Header=BB1_283 Depth=1
	s_mov_b64 s[14:15], 0
.LBB1_364:                              ;   Parent Loop BB1_283 Depth=1
                                        ; =>  This Inner Loop Header: Depth=2
	s_sleep 1
	global_store_dwordx2 v[2:3], v[12:13], off
	v_mov_b32_e32 v10, s4
	v_mov_b32_e32 v11, s5
	s_waitcnt vmcnt(0)
	global_atomic_cmpswap_x2 v[6:7], v29, v[10:13], s[10:11] offset:24 glc
	s_waitcnt vmcnt(0)
	v_cmp_eq_u64_e32 vcc, v[6:7], v[12:13]
	v_mov_b32_e32 v13, v7
	s_or_b64 s[14:15], vcc, s[14:15]
	v_mov_b32_e32 v12, v6
	s_andn2_b64 exec, exec, s[14:15]
	s_cbranch_execnz .LBB1_364
	s_branch .LBB1_282
.LBB1_365:
	s_or_b64 exec, exec, s[12:13]
                                        ; implicit-def: $vgpr35
                                        ; implicit-def: $vgpr34
.LBB1_366:
	s_andn2_saveexec_b64 s[6:7], s[6:7]
	s_cbranch_execz .LBB1_393
; %bb.367:
	v_readfirstlane_b32 s4, v34
	v_mov_b32_e32 v8, 0
	v_mov_b32_e32 v9, 0
	v_cmp_eq_u32_e64 s[4:5], s4, v34
	s_and_saveexec_b64 s[12:13], s[4:5]
	s_cbranch_execz .LBB1_373
; %bb.368:
	v_mov_b32_e32 v2, 0
	global_load_dwordx2 v[5:6], v2, s[10:11] offset:24 glc
	s_waitcnt vmcnt(0)
	buffer_wbinvl1_vol
	global_load_dwordx2 v[3:4], v2, s[10:11] offset:40
	global_load_dwordx2 v[7:8], v2, s[10:11]
	s_waitcnt vmcnt(1)
	v_and_b32_e32 v3, v3, v5
	v_and_b32_e32 v4, v4, v6
	v_mul_lo_u32 v4, v4, 24
	v_mul_hi_u32 v9, v3, 24
	v_mul_lo_u32 v3, v3, 24
	v_add_u32_e32 v4, v9, v4
	s_waitcnt vmcnt(0)
	v_add_co_u32_e32 v3, vcc, v7, v3
	v_addc_co_u32_e32 v4, vcc, v8, v4, vcc
	global_load_dwordx2 v[3:4], v[3:4], off glc
	s_waitcnt vmcnt(0)
	global_atomic_cmpswap_x2 v[8:9], v2, v[3:6], s[10:11] offset:24 glc
	s_waitcnt vmcnt(0)
	buffer_wbinvl1_vol
	v_cmp_ne_u64_e32 vcc, v[8:9], v[5:6]
	s_and_saveexec_b64 s[14:15], vcc
	s_cbranch_execz .LBB1_372
; %bb.369:
	s_mov_b64 s[16:17], 0
.LBB1_370:                              ; =>This Inner Loop Header: Depth=1
	s_sleep 1
	global_load_dwordx2 v[3:4], v2, s[10:11] offset:40
	global_load_dwordx2 v[10:11], v2, s[10:11]
	v_mov_b32_e32 v5, v8
	v_mov_b32_e32 v6, v9
	s_waitcnt vmcnt(1)
	v_and_b32_e32 v3, v3, v5
	s_waitcnt vmcnt(0)
	v_mad_u64_u32 v[7:8], s[18:19], v3, 24, v[10:11]
	v_and_b32_e32 v4, v4, v6
	v_mov_b32_e32 v3, v8
	v_mad_u64_u32 v[3:4], s[18:19], v4, 24, v[3:4]
	v_mov_b32_e32 v8, v3
	global_load_dwordx2 v[3:4], v[7:8], off glc
	s_waitcnt vmcnt(0)
	global_atomic_cmpswap_x2 v[8:9], v2, v[3:6], s[10:11] offset:24 glc
	s_waitcnt vmcnt(0)
	buffer_wbinvl1_vol
	v_cmp_eq_u64_e32 vcc, v[8:9], v[5:6]
	s_or_b64 s[16:17], vcc, s[16:17]
	s_andn2_b64 exec, exec, s[16:17]
	s_cbranch_execnz .LBB1_370
; %bb.371:
	s_or_b64 exec, exec, s[16:17]
.LBB1_372:
	s_or_b64 exec, exec, s[14:15]
.LBB1_373:
	s_or_b64 exec, exec, s[12:13]
	v_mov_b32_e32 v2, 0
	global_load_dwordx2 v[10:11], v2, s[10:11] offset:40
	global_load_dwordx4 v[4:7], v2, s[10:11]
	v_readfirstlane_b32 s13, v9
	v_readfirstlane_b32 s12, v8
	s_mov_b64 s[14:15], exec
	s_waitcnt vmcnt(1)
	v_readfirstlane_b32 s16, v10
	v_readfirstlane_b32 s17, v11
	s_and_b64 s[16:17], s[16:17], s[12:13]
	s_mul_i32 s18, s17, 24
	s_mul_hi_u32 s19, s16, 24
	s_mul_i32 s20, s16, 24
	s_add_i32 s18, s19, s18
	v_mov_b32_e32 v3, s18
	s_waitcnt vmcnt(0)
	v_add_co_u32_e32 v8, vcc, s20, v4
	v_addc_co_u32_e32 v9, vcc, v5, v3, vcc
	s_and_saveexec_b64 s[18:19], s[4:5]
	s_cbranch_execz .LBB1_375
; %bb.374:
	v_mov_b32_e32 v10, s14
	v_mov_b32_e32 v11, s15
	;; [unrolled: 1-line block ×4, first 2 shown]
	global_store_dwordx4 v[8:9], v[10:13], off offset:8
.LBB1_375:
	s_or_b64 exec, exec, s[18:19]
	s_lshl_b64 s[14:15], s[16:17], 12
	v_mov_b32_e32 v3, s15
	v_add_co_u32_e32 v10, vcc, s14, v6
	v_addc_co_u32_e32 v11, vcc, v7, v3, vcc
	s_movk_i32 s14, 0xff1f
	v_and_or_b32 v0, v0, s14, 32
	s_mov_b32 s16, 0
	v_mov_b32_e32 v3, v2
	v_readfirstlane_b32 s14, v10
	v_readfirstlane_b32 s15, v11
	v_add_co_u32_e32 v6, vcc, v10, v35
	s_mov_b32 s17, s16
	s_mov_b32 s18, s16
	s_mov_b32 s19, s16
	s_nop 0
	global_store_dwordx4 v35, v[0:3], s[14:15]
	v_addc_co_u32_e32 v7, vcc, 0, v11, vcc
	v_mov_b32_e32 v0, s16
	v_mov_b32_e32 v1, s17
	;; [unrolled: 1-line block ×4, first 2 shown]
	global_store_dwordx4 v35, v[0:3], s[14:15] offset:16
	global_store_dwordx4 v35, v[0:3], s[14:15] offset:32
	;; [unrolled: 1-line block ×3, first 2 shown]
	s_and_saveexec_b64 s[14:15], s[4:5]
	s_cbranch_execz .LBB1_383
; %bb.376:
	v_mov_b32_e32 v10, 0
	global_load_dwordx2 v[13:14], v10, s[10:11] offset:32 glc
	global_load_dwordx2 v[0:1], v10, s[10:11] offset:40
	v_mov_b32_e32 v11, s12
	v_mov_b32_e32 v12, s13
	s_waitcnt vmcnt(0)
	v_readfirstlane_b32 s16, v0
	v_readfirstlane_b32 s17, v1
	s_and_b64 s[16:17], s[16:17], s[12:13]
	s_mul_i32 s17, s17, 24
	s_mul_hi_u32 s18, s16, 24
	s_mul_i32 s16, s16, 24
	s_add_i32 s17, s18, s17
	v_mov_b32_e32 v0, s17
	v_add_co_u32_e32 v4, vcc, s16, v4
	v_addc_co_u32_e32 v5, vcc, v5, v0, vcc
	global_store_dwordx2 v[4:5], v[13:14], off
	s_waitcnt vmcnt(0)
	global_atomic_cmpswap_x2 v[2:3], v10, v[11:14], s[10:11] offset:32 glc
	s_waitcnt vmcnt(0)
	v_cmp_ne_u64_e32 vcc, v[2:3], v[13:14]
	s_and_saveexec_b64 s[16:17], vcc
	s_cbranch_execz .LBB1_379
; %bb.377:
	s_mov_b64 s[18:19], 0
.LBB1_378:                              ; =>This Inner Loop Header: Depth=1
	s_sleep 1
	global_store_dwordx2 v[4:5], v[2:3], off
	v_mov_b32_e32 v0, s12
	v_mov_b32_e32 v1, s13
	s_waitcnt vmcnt(0)
	global_atomic_cmpswap_x2 v[0:1], v10, v[0:3], s[10:11] offset:32 glc
	s_waitcnt vmcnt(0)
	v_cmp_eq_u64_e32 vcc, v[0:1], v[2:3]
	v_mov_b32_e32 v3, v1
	s_or_b64 s[18:19], vcc, s[18:19]
	v_mov_b32_e32 v2, v0
	s_andn2_b64 exec, exec, s[18:19]
	s_cbranch_execnz .LBB1_378
.LBB1_379:
	s_or_b64 exec, exec, s[16:17]
	v_mov_b32_e32 v3, 0
	global_load_dwordx2 v[0:1], v3, s[10:11] offset:16
	s_mov_b64 s[16:17], exec
	v_mbcnt_lo_u32_b32 v2, s16, 0
	v_mbcnt_hi_u32_b32 v2, s17, v2
	v_cmp_eq_u32_e32 vcc, 0, v2
	s_and_saveexec_b64 s[18:19], vcc
	s_cbranch_execz .LBB1_381
; %bb.380:
	s_bcnt1_i32_b64 s16, s[16:17]
	v_mov_b32_e32 v2, s16
	s_waitcnt vmcnt(0)
	global_atomic_add_x2 v[0:1], v[2:3], off offset:8
.LBB1_381:
	s_or_b64 exec, exec, s[18:19]
	s_waitcnt vmcnt(0)
	global_load_dwordx2 v[2:3], v[0:1], off offset:16
	s_waitcnt vmcnt(0)
	v_cmp_eq_u64_e32 vcc, 0, v[2:3]
	s_cbranch_vccnz .LBB1_383
; %bb.382:
	global_load_dword v0, v[0:1], off offset:24
	v_mov_b32_e32 v1, 0
	s_waitcnt vmcnt(0)
	v_readfirstlane_b32 s16, v0
	s_and_b32 m0, s16, 0xffffff
	global_store_dwordx2 v[2:3], v[0:1], off
	s_sendmsg sendmsg(MSG_INTERRUPT)
.LBB1_383:
	s_or_b64 exec, exec, s[14:15]
	s_branch .LBB1_387
.LBB1_384:                              ;   in Loop: Header=BB1_387 Depth=1
	s_or_b64 exec, exec, s[14:15]
	v_readfirstlane_b32 s14, v0
	s_cmp_eq_u32 s14, 0
	s_cbranch_scc1 .LBB1_386
; %bb.385:                              ;   in Loop: Header=BB1_387 Depth=1
	s_sleep 1
	s_cbranch_execnz .LBB1_387
	s_branch .LBB1_389
.LBB1_386:
	s_branch .LBB1_389
.LBB1_387:                              ; =>This Inner Loop Header: Depth=1
	v_mov_b32_e32 v0, 1
	s_and_saveexec_b64 s[14:15], s[4:5]
	s_cbranch_execz .LBB1_384
; %bb.388:                              ;   in Loop: Header=BB1_387 Depth=1
	global_load_dword v0, v[8:9], off offset:20 glc
	s_waitcnt vmcnt(0)
	buffer_wbinvl1_vol
	v_and_b32_e32 v0, 1, v0
	s_branch .LBB1_384
.LBB1_389:
	global_load_dwordx2 v[0:1], v[6:7], off
	s_and_saveexec_b64 s[14:15], s[4:5]
	s_cbranch_execz .LBB1_392
; %bb.390:
	v_mov_b32_e32 v8, 0
	global_load_dwordx2 v[2:3], v8, s[10:11] offset:40
	global_load_dwordx2 v[11:12], v8, s[10:11] offset:24 glc
	global_load_dwordx2 v[4:5], v8, s[10:11]
	s_waitcnt vmcnt(2)
	v_readfirstlane_b32 s16, v2
	v_readfirstlane_b32 s17, v3
	s_add_u32 s18, s16, 1
	s_addc_u32 s19, s17, 0
	s_add_u32 s4, s18, s12
	s_addc_u32 s5, s19, s13
	s_cmp_eq_u64 s[4:5], 0
	s_cselect_b32 s5, s19, s5
	s_cselect_b32 s4, s18, s4
	s_and_b64 s[12:13], s[4:5], s[16:17]
	s_mul_i32 s13, s13, 24
	s_mul_hi_u32 s16, s12, 24
	s_mul_i32 s12, s12, 24
	s_add_i32 s13, s16, s13
	v_mov_b32_e32 v2, s13
	s_waitcnt vmcnt(0)
	v_add_co_u32_e32 v6, vcc, s12, v4
	v_addc_co_u32_e32 v7, vcc, v5, v2, vcc
	v_mov_b32_e32 v9, s4
	global_store_dwordx2 v[6:7], v[11:12], off
	v_mov_b32_e32 v10, s5
	s_waitcnt vmcnt(0)
	global_atomic_cmpswap_x2 v[4:5], v8, v[9:12], s[10:11] offset:24 glc
	s_mov_b64 s[12:13], 0
	s_waitcnt vmcnt(0)
	v_cmp_ne_u64_e32 vcc, v[4:5], v[11:12]
	s_and_b64 exec, exec, vcc
	s_cbranch_execz .LBB1_392
.LBB1_391:                              ; =>This Inner Loop Header: Depth=1
	s_sleep 1
	global_store_dwordx2 v[6:7], v[4:5], off
	v_mov_b32_e32 v2, s4
	v_mov_b32_e32 v3, s5
	s_waitcnt vmcnt(0)
	global_atomic_cmpswap_x2 v[2:3], v8, v[2:5], s[10:11] offset:24 glc
	s_waitcnt vmcnt(0)
	v_cmp_eq_u64_e32 vcc, v[2:3], v[4:5]
	v_mov_b32_e32 v5, v3
	s_or_b64 s[12:13], vcc, s[12:13]
	v_mov_b32_e32 v4, v2
	s_andn2_b64 exec, exec, s[12:13]
	s_cbranch_execnz .LBB1_391
.LBB1_392:
	s_or_b64 exec, exec, s[14:15]
.LBB1_393:
	s_or_b64 exec, exec, s[6:7]
	s_getpc_b64 s[4:5]
	s_add_u32 s4, s4, .str.3@rel32@lo+4
	s_addc_u32 s5, s5, .str.3@rel32@hi+12
	s_getpc_b64 s[6:7]
	s_add_u32 s6, s6, .str.3@rel32@lo+32
	s_addc_u32 s7, s7, .str.3@rel32@hi+40
	s_sub_i32 s10, s6, s4
	s_ashr_i32 s11, s10, 31
	s_getpc_b64 s[6:7]
	s_add_u32 s6, s6, __ockl_fprintf_append_string_n@rel32@lo+4
	s_addc_u32 s7, s7, __ockl_fprintf_append_string_n@rel32@hi+12
	v_mov_b32_e32 v2, s4
	v_mov_b32_e32 v3, s5
	;; [unrolled: 1-line block ×5, first 2 shown]
	s_swappc_b64 s[30:31], s[6:7]
	s_trap 2
.Lfunc_end1:
	.size	__assert_fail, .Lfunc_end1-__assert_fail
                                        ; -- End function
	.set .L__assert_fail.num_vgpr, max(41, .L__ockl_fprintf_append_string_n.num_vgpr)
	.set .L__assert_fail.num_agpr, max(0, .L__ockl_fprintf_append_string_n.num_agpr)
	.set .L__assert_fail.numbered_sgpr, max(34, .L__ockl_fprintf_append_string_n.numbered_sgpr)
	.set .L__assert_fail.num_named_barrier, max(0, .L__ockl_fprintf_append_string_n.num_named_barrier)
	.set .L__assert_fail.private_seg_size, 64+max(.L__ockl_fprintf_append_string_n.private_seg_size)
	.set .L__assert_fail.uses_vcc, or(1, .L__ockl_fprintf_append_string_n.uses_vcc)
	.set .L__assert_fail.uses_flat_scratch, or(0, .L__ockl_fprintf_append_string_n.uses_flat_scratch)
	.set .L__assert_fail.has_dyn_sized_stack, or(0, .L__ockl_fprintf_append_string_n.has_dyn_sized_stack)
	.set .L__assert_fail.has_recursion, or(0, .L__ockl_fprintf_append_string_n.has_recursion)
	.set .L__assert_fail.has_indirect_call, or(0, .L__ockl_fprintf_append_string_n.has_indirect_call)
	.section	.AMDGPU.csdata,"",@progbits
; Function info:
; codeLenInByte = 13844
; TotalNumSgprs: 38
; NumVgprs: 41
; ScratchSize: 64
; MemoryBound: 0
	.text
	.p2align	2                               ; -- Begin function _ZN12_GLOBAL__N_17runRingIf8FuncProdIfE11ProtoSimpleILi2ELi2ELi0ELi1ELi0ELi0EELi0ELi0ELi1ELi0EEEviiP15ncclDevWorkColl
	.type	_ZN12_GLOBAL__N_17runRingIf8FuncProdIfE11ProtoSimpleILi2ELi2ELi0ELi1ELi0ELi0EELi0ELi0ELi1ELi0EEEviiP15ncclDevWorkColl,@function
_ZN12_GLOBAL__N_17runRingIf8FuncProdIfE11ProtoSimpleILi2ELi2ELi0ELi1ELi0ELi0EELi0ELi0ELi1ELi0EEEviiP15ncclDevWorkColl: ; @_ZN12_GLOBAL__N_17runRingIf8FuncProdIfE11ProtoSimpleILi2ELi2ELi0ELi1ELi0ELi0EELi0ELi0ELi1ELi0EEEviiP15ncclDevWorkColl
; %bb.0:
	s_waitcnt vmcnt(0) expcnt(0) lgkmcnt(0)
	s_mov_b32 s4, s33
	s_mov_b32 s33, s32
	s_or_saveexec_b64 s[6:7], -1
	buffer_store_dword v63, off, s[0:3], s33 offset:224 ; 4-byte Folded Spill
	s_mov_b64 exec, s[6:7]
	v_writelane_b32 v63, s4, 26
	s_addk_i32 s32, 0x3c00
	buffer_store_dword v40, off, s[0:3], s33 offset:56 ; 4-byte Folded Spill
	buffer_store_dword v41, off, s[0:3], s33 offset:52 ; 4-byte Folded Spill
	;; [unrolled: 1-line block ×14, first 2 shown]
	buffer_store_dword v62, off, s[0:3], s33 ; 4-byte Folded Spill
	v_writelane_b32 v63, s34, 0
	v_writelane_b32 v63, s35, 1
	;; [unrolled: 1-line block ×26, first 2 shown]
	v_mov_b32_e32 v17, v1
	s_trap 2
	flat_load_dword v1, v[2:3]
	ds_read_b32 v4, v0
	v_mov_b32_e32 v58, v0
                                        ; implicit-def: $vgpr28_vgpr29
                                        ; implicit-def: $vgpr5_vgpr6
                                        ; kill: killed $vgpr5_vgpr6
                                        ; implicit-def: $vgpr22_vgpr23
	s_waitcnt lgkmcnt(0)
	v_readfirstlane_b32 s52, v4
	s_waitcnt vmcnt(0)
	v_cmp_ne_u32_sdwa s[4:5], v4, v1 src0_sel:DWORD src1_sel:BYTE_0
	s_and_saveexec_b64 s[6:7], s[4:5]
	s_xor_b64 s[4:5], exec, s[6:7]
	s_cbranch_execz .LBB2_6
; %bb.1:
	v_not_b32_sdwa v0, v1 dst_sel:DWORD dst_unused:UNUSED_PAD src0_sel:BYTE_0
	v_cmp_ne_u32_sdwa s[6:7], v4, v1 src0_sel:DWORD src1_sel:BYTE_1
                                        ; implicit-def: $vgpr28_vgpr29
                                        ; implicit-def: $vgpr5_vgpr6
                                        ; kill: killed $vgpr5_vgpr6
                                        ; implicit-def: $vgpr22_vgpr23
	s_and_saveexec_b64 s[10:11], s[6:7]
	s_xor_b64 s[6:7], exec, s[10:11]
	s_cbranch_execz .LBB2_3
; %bb.2:
	flat_load_dwordx4 v[5:8], v[2:3] offset:72
	flat_load_dwordx2 v[9:10], v[2:3] offset:96
	v_add_u32_e32 v0, v4, v0
	v_ashrrev_i32_e32 v1, 31, v0
	s_waitcnt vmcnt(0) lgkmcnt(0)
	v_mul_lo_u32 v1, v7, v1
	v_mad_u64_u32 v[4:5], s[10:11], v7, v0, v[5:6]
	v_mul_lo_u32 v0, v8, v0
	v_mov_b32_e32 v23, v8
	v_lshrrev_b64 v[28:29], 14, v[9:10]
	v_mov_b32_e32 v22, v7
	v_add3_u32 v5, v0, v5, v1
	buffer_store_dword v4, off, s[0:3], s33 offset:156 ; 4-byte Folded Spill
	s_nop 0
	buffer_store_dword v5, off, s[0:3], s33 offset:160 ; 4-byte Folded Spill
                                        ; implicit-def: $vgpr1
                                        ; implicit-def: $vgpr0
.LBB2_3:
	s_andn2_saveexec_b64 s[6:7], s[6:7]
	s_cbranch_execz .LBB2_5
; %bb.4:
	flat_load_dwordx4 v[4:7], v[2:3] offset:72
	flat_load_dwordx4 v[22:25], v[2:3] offset:88
	v_add_u32_sdwa v0, v1, v0 dst_sel:DWORD dst_unused:UNUSED_PAD src0_sel:BYTE_1 src1_sel:DWORD
	v_ashrrev_i32_e32 v1, 31, v0
	s_waitcnt vmcnt(0) lgkmcnt(0)
	v_mul_lo_u32 v1, v6, v1
	v_mad_u64_u32 v[4:5], s[10:11], v6, v0, v[4:5]
	v_mul_lo_u32 v0, v7, v0
	v_lshrrev_b32_e32 v28, 3, v25
	v_add3_u32 v5, v0, v5, v1
	buffer_store_dword v4, off, s[0:3], s33 offset:156 ; 4-byte Folded Spill
	s_nop 0
	buffer_store_dword v5, off, s[0:3], s33 offset:160 ; 4-byte Folded Spill
.LBB2_5:
	s_or_b64 exec, exec, s[6:7]
.LBB2_6:
	s_andn2_saveexec_b64 s[4:5], s[4:5]
	s_cbranch_execz .LBB2_8
; %bb.7:
	flat_load_dwordx2 v[0:1], v[2:3] offset:96
	flat_load_dwordx2 v[22:23], v[2:3] offset:72
	s_waitcnt vmcnt(0) lgkmcnt(0)
	v_lshlrev_b64 v[28:29], 7, v[0:1]
	v_mov_b32_e32 v0, 0
	v_mov_b32_e32 v1, 0
	buffer_store_dword v0, off, s[0:3], s33 offset:156 ; 4-byte Folded Spill
	s_nop 0
	buffer_store_dword v1, off, s[0:3], s33 offset:160 ; 4-byte Folded Spill
.LBB2_8:
	s_or_b64 exec, exec, s[4:5]
	s_trap 2
	ds_read_b64 v[0:1], v0
	s_waitcnt lgkmcnt(0)
	v_cmp_ne_u32_e32 vcc, -1, v0
	v_cndmask_b32_e64 v16, 0, 1, vcc
	v_cmp_ne_u32_e32 vcc, -1, v1
	v_addc_co_u32_e64 v4, s[4:5], 0, v16, vcc
	v_lshlrev_b32_e32 v0, 1, v4
	v_cmp_le_u32_e64 s[4:5], v0, v17
	s_and_saveexec_b64 s[6:7], s[4:5]
	s_xor_b64 s[44:45], exec, s[6:7]
	s_cbranch_execz .LBB2_1259
; %bb.9:
	flat_load_dwordx4 v[10:13], v[2:3] offset:16
	flat_load_dwordx2 v[0:1], v[2:3] offset:104
	flat_load_ushort v7, v[2:3] offset:8
	flat_load_dword v6, v[2:3] offset:4
	s_trap 2
	s_load_dword s4, s[8:9], 0x0
	v_mov_b32_e32 v5, 0
	v_mov_b32_e32 v60, 4
	s_waitcnt lgkmcnt(0)
	s_cmp_lt_u32 s12, s4
	s_cselect_b32 s4, 12, 18
	s_add_u32 s4, s8, s4
	s_addc_u32 s5, s9, 0
	global_load_ushort v18, v5, s[4:5]
	v_cmp_ge_i32_e64 s[4:5], v58, v16
	s_waitcnt vmcnt(0)
	ds_read_b32 v5, v0
	s_waitcnt lgkmcnt(0)
	v_readfirstlane_b32 s18, v5
	s_and_saveexec_b64 s[6:7], s[4:5]
	s_cbranch_execz .LBB2_19
; %bb.10:
	v_cmp_ge_u32_e64 s[4:5], v58, v4
                                        ; implicit-def: $vgpr60
	s_and_saveexec_b64 s[10:11], s[4:5]
	s_xor_b64 s[4:5], exec, s[10:11]
	s_cbranch_execz .LBB2_16
; %bb.11:
	v_cndmask_b32_e64 v5, 0, 1, vcc
	v_sub_u32_e32 v5, v17, v5
	v_cmp_ge_u32_e32 vcc, v58, v5
	s_and_saveexec_b64 s[10:11], vcc
	s_xor_b64 s[10:11], exec, s[10:11]
; %bb.12:
                                        ; implicit-def: $vgpr4
; %bb.13:
	s_or_saveexec_b64 s[10:11], s[10:11]
	v_mov_b32_e32 v60, 16
	s_xor_b64 exec, exec, s[10:11]
; %bb.14:
	v_sub_u32_e32 v4, v17, v4
	v_cmp_lt_i32_e32 vcc, v58, v4
	v_cndmask_b32_e64 v60, 32, 0, vcc
; %bb.15:
	s_or_b64 exec, exec, s[10:11]
.LBB2_16:
	s_andn2_saveexec_b64 s[4:5], s[4:5]
; %bb.17:
	v_mov_b32_e32 v60, 8
; %bb.18:
	s_or_b64 exec, exec, s[4:5]
.LBB2_19:
	s_or_b64 exec, exec, s[6:7]
	v_and_b32_e32 v4, 36, v60
	v_cmp_ne_u32_e32 vcc, 0, v4
	v_mov_b32_e32 v8, -1
	s_and_saveexec_b64 s[4:5], vcc
	s_cbranch_execz .LBB2_21
; %bb.20:
	s_trap 2
	ds_read_b32 v8, v0
.LBB2_21:
	s_or_b64 exec, exec, s[4:5]
	v_and_b32_e32 v4, 24, v60
	v_cmp_ne_u32_e64 s[4:5], 0, v4
	s_and_saveexec_b64 s[6:7], s[4:5]
	s_cbranch_execz .LBB2_23
; %bb.22:
	s_trap 2
	s_waitcnt lgkmcnt(0)
	ds_read_b32 v8, v0
.LBB2_23:
	s_or_b64 exec, exec, s[6:7]
	v_lshrrev_b64 v[4:5], 31, v[6:7]
	v_mov_b32_e32 v29, 0
	v_mov_b32_e32 v34, 0
	;; [unrolled: 1-line block ×3, first 2 shown]
	v_and_b32_e32 v4, 3, v4
	v_mov_b32_e32 v35, 0
	s_waitcnt lgkmcnt(0)
	v_ashrrev_i32_e32 v9, 31, v8
                                        ; implicit-def: $vgpr5_vgpr6
                                        ; kill: killed $vgpr5_vgpr6
                                        ; implicit-def: $vgpr61
                                        ; implicit-def: $vgpr38_vgpr39
                                        ; implicit-def: $vgpr6_vgpr7
                                        ; implicit-def: $vgpr26_vgpr27
                                        ; implicit-def: $vgpr20_vgpr21
	s_and_saveexec_b64 s[4:5], vcc
	s_cbranch_execz .LBB2_33
; %bb.24:
	s_trap 2
	ds_read_b64 v[5:6], v0
	v_lshlrev_b64 v[14:15], 3, v[8:9]
	v_and_b32_e32 v7, 0xffff, v4
	s_movk_i32 s6, 0xa8
	s_waitcnt lgkmcnt(0)
	v_add_co_u32_e32 v5, vcc, v5, v14
	v_addc_co_u32_e32 v6, vcc, v6, v15, vcc
	flat_load_dwordx2 v[5:6], v[5:6]
	s_waitcnt vmcnt(0) lgkmcnt(0)
	v_mad_u64_u32 v[24:25], s[6:7], v7, s6, v[5:6]
	flat_load_dword v5, v[24:25] offset:640
	s_waitcnt vmcnt(0) lgkmcnt(0)
	v_cmp_eq_u32_e32 vcc, 1, v5
                                        ; implicit-def: $vgpr5_vgpr6
                                        ; kill: killed $vgpr5_vgpr6
	s_and_saveexec_b64 s[6:7], vcc
	s_cbranch_execz .LBB2_26
; %bb.25:
	flat_load_dwordx2 v[14:15], v[24:25] offset:648
	v_or_b32_e32 v60, 0x2000, v60
	s_waitcnt vmcnt(0) lgkmcnt(0)
	flat_load_dwordx2 v[5:6], v[14:15]
	s_trap 2
	s_waitcnt vmcnt(0) lgkmcnt(0)
	ds_write_b64 v0, v[5:6]
	flat_load_dwordx2 v[5:6], v[14:15] offset:8
	s_waitcnt vmcnt(0) lgkmcnt(0)
	ds_write_b64 v0, v[5:6]
	buffer_store_dword v14, off, s[0:3], s33 offset:216 ; 4-byte Folded Spill
	s_nop 0
	buffer_store_dword v15, off, s[0:3], s33 offset:220 ; 4-byte Folded Spill
	flat_load_dwordx2 v[5:6], v[14:15] offset:16
	s_waitcnt vmcnt(0) lgkmcnt(0)
	ds_write_b64 v0, v[5:6]
.LBB2_26:
	s_or_b64 exec, exec, s[6:7]
	flat_load_dwordx2 v[5:6], v[24:25] offset:608
	v_and_b32_e32 v7, 32, v60
                                        ; implicit-def: $vgpr20_vgpr21
	s_waitcnt vmcnt(0) lgkmcnt(0)
	v_add_co_u32_e32 v5, vcc, 3, v5
	v_addc_co_u32_e32 v39, vcc, 0, v6, vcc
	v_and_b32_e32 v38, -4, v5
	v_cmp_ne_u32_e32 vcc, 0, v7
	s_and_saveexec_b64 s[6:7], vcc
	s_cbranch_execz .LBB2_28
; %bb.27:
	flat_load_dwordx2 v[20:21], v[24:25] offset:560
	s_waitcnt vmcnt(0) lgkmcnt(0)
	flat_store_dwordx2 v[20:21], v[38:39]
.LBB2_28:
	s_or_b64 exec, exec, s[6:7]
	v_add_co_u32_e32 v29, vcc, 0x1f8, v24
	v_addc_co_u32_e32 v30, vcc, 0, v25, vcc
	v_and_b32_e32 v5, 4, v60
	v_mov_b32_e32 v34, 0
	v_mov_b32_e32 v35, 0
	v_cmp_ne_u32_e32 vcc, 0, v5
                                        ; implicit-def: $vgpr61
                                        ; implicit-def: $vgpr6_vgpr7
                                        ; implicit-def: $vgpr26_vgpr27
	s_and_saveexec_b64 s[6:7], vcc
	s_cbranch_execz .LBB2_32
; %bb.29:
	v_and_b32_e32 v5, 0x800, v60
	v_cmp_eq_u32_e32 vcc, 0, v5
	s_and_saveexec_b64 s[10:11], vcc
	s_cbranch_execz .LBB2_31
; %bb.30:
	s_trap 2
	ds_write_b64 v0, v[29:30]
.LBB2_31:
	s_or_b64 exec, exec, s[10:11]
	flat_load_dwordx2 v[20:21], v[24:25] offset:552
	v_or_b32_e32 v14, 0x100, v60
	s_waitcnt vmcnt(0) lgkmcnt(0)
	flat_load_dwordx2 v[26:27], v[20:21] glc
	flat_load_dword v5, v[24:25] offset:576
	flat_load_dwordx2 v[34:35], v[24:25] offset:600
	flat_load_dwordx2 v[6:7], v[24:25] offset:520
	s_waitcnt vmcnt(0) lgkmcnt(0)
	v_ashrrev_i32_e32 v61, 2, v5
	v_cmp_eq_u64_e32 vcc, 0, v[34:35]
	v_cndmask_b32_e32 v60, v14, v60, vcc
.LBB2_32:
	s_or_b64 exec, exec, s[6:7]
.LBB2_33:
	s_or_b64 exec, exec, s[4:5]
	v_and_b32_e32 v5, 24, v60
	v_cmp_ne_u32_e32 vcc, 0, v5
                                        ; implicit-def: $vgpr24_vgpr25
	s_and_saveexec_b64 s[4:5], vcc
	s_cbranch_execz .LBB2_41
; %bb.34:
	s_trap 2
	ds_read_b64 v[14:15], v0
	v_lshlrev_b64 v[8:9], 3, v[8:9]
	v_and_b32_e32 v4, 0xffff, v4
	s_movk_i32 s6, 0xa8
                                        ; implicit-def: $vgpr24_vgpr25
	s_waitcnt lgkmcnt(0)
	v_add_co_u32_e32 v8, vcc, v14, v8
	v_addc_co_u32_e32 v9, vcc, v15, v9, vcc
	flat_load_dwordx2 v[8:9], v[8:9]
	s_waitcnt vmcnt(0) lgkmcnt(0)
	v_mad_u64_u32 v[29:30], s[6:7], v4, s6, v[8:9]
	v_or_b32_e32 v4, 0x100, v60
	flat_load_dwordx4 v[34:37], v[29:30] offset:96
	s_waitcnt vmcnt(0) lgkmcnt(0)
	v_cmp_eq_u64_e32 vcc, 0, v[34:35]
	v_cndmask_b32_e32 v60, v4, v60, vcc
	v_and_b32_e32 v4, 16, v60
	v_cmp_ne_u32_e32 vcc, 0, v4
	s_and_saveexec_b64 s[6:7], vcc
	s_cbranch_execz .LBB2_36
; %bb.35:
	flat_load_dwordx2 v[20:21], v[29:30] offset:48
	flat_load_dwordx2 v[24:25], v[29:30] offset:120
	;; [unrolled: 1-line block ×3, first 2 shown]
.LBB2_36:
	s_or_b64 exec, exec, s[6:7]
	v_add_co_u32_e32 v4, vcc, 3, v36
	v_addc_co_u32_e32 v39, vcc, 0, v37, vcc
	v_and_b32_e32 v38, -4, v4
	v_and_b32_e32 v4, 8, v60
	v_cmp_ne_u32_e32 vcc, 0, v4
	s_and_saveexec_b64 s[6:7], vcc
	s_cbranch_execz .LBB2_40
; %bb.37:
	v_and_b32_e32 v4, 0x800, v60
	v_cmp_eq_u32_e32 vcc, 0, v4
	s_and_saveexec_b64 s[10:11], vcc
	s_cbranch_execz .LBB2_39
; %bb.38:
	s_trap 2
	ds_write_b64 v0, v[29:30]
.LBB2_39:
	s_or_b64 exec, exec, s[10:11]
	s_waitcnt vmcnt(0) lgkmcnt(0)
	flat_load_dwordx2 v[20:21], v[29:30] offset:56
	s_waitcnt vmcnt(0) lgkmcnt(0)
	flat_load_dwordx2 v[26:27], v[20:21] glc
	flat_load_dword v4, v[29:30] offset:72
	flat_load_dwordx2 v[6:7], v[29:30] offset:16
	s_waitcnt vmcnt(0) lgkmcnt(0)
	v_ashrrev_i32_e32 v61, 2, v4
.LBB2_40:
	s_or_b64 exec, exec, s[6:7]
.LBB2_41:
	s_or_b64 exec, exec, s[4:5]
	v_cmp_eq_u32_e64 s[4:5], 0, v58
	s_and_saveexec_b64 s[6:7], s[4:5]
	s_cbranch_execz .LBB2_43
; %bb.42:
	flat_load_dwordx2 v[4:5], v[2:3] offset:32
	v_mov_b32_e32 v8, v12
	v_mov_b32_e32 v9, v13
	ds_write2_b64 v0, v[8:9], v[10:11] offset1:1
	s_trap 2
	s_waitcnt vmcnt(0) lgkmcnt(0)
	ds_write_b64 v0, v[4:5]
	ds_write_b64 v0, v[0:1]
.LBB2_43:
	s_or_b64 exec, exec, s[6:7]
	v_mov_b32_e32 v12, 0
	v_cmp_lt_i64_e32 vcc, 0, v[22:23]
	v_mov_b32_e32 v13, 0
	s_and_saveexec_b64 s[46:47], vcc
	s_cbranch_execz .LBB2_1225
; %bb.44:
	buffer_store_dword v29, off, s[0:3], s33 offset:208 ; 4-byte Folded Spill
	s_nop 0
	buffer_store_dword v30, off, s[0:3], s33 offset:212 ; 4-byte Folded Spill
	flat_load_dword v0, v[2:3] offset:4
	v_mov_b32_e32 v2, 0
	s_ashr_i32 s16, s18, 31
	v_and_b32_e32 v1, 63, v31
	v_ashrrev_i32_e32 v3, 31, v58
	v_lshlrev_b32_e32 v50, 4, v58
	v_and_b32_e32 v8, 0xfffff80, v28
	v_mov_b32_e32 v9, v2
	s_lshr_b32 s22, s16, 29
	v_cmp_eq_u32_e64 s[16:17], 0, v1
	v_lshrrev_b32_e32 v1, 26, v3
	v_ashrrev_i32_e32 v3, 31, v50
	buffer_store_dword v31, off, s[0:3], s33 offset:200 ; 4-byte Folded Spill
	s_trap 2
	buffer_store_dword v18, off, s[0:3], s33 offset:204 ; 4-byte Folded Spill
	buffer_store_dword v17, off, s[0:3], s33 offset:196 ; 4-byte Folded Spill
	;; [unrolled: 1-line block ×4, first 2 shown]
	s_nop 0
	buffer_store_dword v9, off, s[0:3], s33 offset:120 ; 4-byte Folded Spill
	s_add_i32 s24, s18, s22
	s_ashr_i32 s53, s52, 31
	s_ashr_i32 s25, s24, 5
	s_add_u32 s55, s52, -1
	s_addc_u32 s64, s53, -1
	s_add_i32 s65, s52, s52
	s_not_b32 s27, s52
	s_cmp_gt_i32 s52, 0
	s_cselect_b32 s27, s27, -1
	s_ashr_i32 s24, s24, 31
	s_lshr_b32 s24, s24, 28
	s_add_i32 s66, s27, s65
	s_add_i32 s25, s25, s24
	s_ashr_i32 s67, s66, 31
	s_ashr_i32 s68, s25, 4
	v_lshrrev_b32_e32 v62, 6, v17
	v_add_u32_e32 v1, v58, v1
	s_cmp_gt_i32 s52, 2
	v_lshlrev_b32_e32 v4, 2, v17
	v_lshlrev_b32_e32 v32, 10, v62
	v_ashrrev_i32_e32 v9, 6, v1
	v_and_b32_e32 v1, 0xffffffc0, v1
	s_cselect_b64 s[60:61], -1, 0
	s_add_i32 s27, s52, 1
	s_movk_i32 s19, 0x400
	v_and_b32_e32 v4, 0xff00, v4
	v_add_u32_e32 v5, 0xfffffc00, v32
	v_sub_u32_e32 v11, v58, v1
	v_sub_u32_e32 v1, 0, v9
	v_cmp_ge_i32_e32 vcc, v58, v17
	s_movk_i32 s26, 0x100
	v_ashrrev_i32_e32 v29, 31, v5
	v_lshlrev_b32_e32 v3, 11, v9
	buffer_store_dword v1, off, s[0:3], s33 offset:88 ; 4-byte Folded Spill
	v_add_co_u32_e64 v1, s[18:19], s19, v5
	s_waitcnt vmcnt(0) lgkmcnt(0)
	v_cmp_eq_u64_e64 s[12:13], 0, v[24:25]
	v_cmp_ne_u64_e64 s[14:15], 0, v[24:25]
	v_mov_b32_e32 v36, 0
	v_mov_b32_e32 v12, 0
	buffer_store_dword v9, off, s[0:3], s33 offset:68 ; 4-byte Folded Spill
	v_addc_co_u32_e64 v31, s[18:19], 0, v29, s[18:19]
	v_lshl_add_u32 v14, v11, 4, v3
	v_ashrrev_i32_e32 v57, 31, v61
	v_cmp_eq_u32_e64 s[6:7], 64, v17
	v_cmp_ne_u32_e64 s[10:11], 64, v17
	v_cmp_ne_u32_sdwa s[56:57], v17, v18 src0_sel:DWORD src1_sel:WORD_0
	s_mov_b64 s[58:59], 0
	v_mov_b32_e32 v28, 1
	s_movk_i32 s54, 0x108
	v_mov_b32_e32 v51, 0xc8
	v_mov_b32_e32 v30, 0x90
	;; [unrolled: 1-line block ×5, first 2 shown]
	v_lshlrev_b32_e32 v46, 11, v62
	v_lshlrev_b32_e32 v33, 9, v62
	v_cmp_gt_i32_e64 s[18:19], 1, v11
	v_cmp_le_i32_e64 s[22:23], v11, v16
	v_ashrrev_i32_e32 v15, 31, v14
	buffer_store_dword v11, off, s[0:3], s33 offset:104 ; 4-byte Folded Spill
	buffer_store_dword v14, off, s[0:3], s33 offset:136 ; 4-byte Folded Spill
	s_nop 0
	buffer_store_dword v15, off, s[0:3], s33 offset:140 ; 4-byte Folded Spill
	v_and_b32_e32 v0, 1, v0
	v_cmp_eq_u32_e64 s[24:25], 1, v0
	s_xor_b64 s[62:63], s[24:25], -1
	s_cmp_ge_i32 s27, s52
	s_cselect_b32 s28, s52, 0
	s_xor_b64 s[72:73], vcc, -1
	s_sub_i32 s70, s27, s28
	s_add_i32 s69, s52, -2
	s_ashr_i32 s74, s53, 31
	s_ashr_i32 s71, s70, 31
	v_mad_i64_i32 v[48:49], s[20:21], v8, s52, 0
	v_add_u32_e32 v8, 0xffffff00, v4
	v_ashrrev_i32_e32 v10, 31, v8
	v_add_co_u32_e32 v0, vcc, s26, v8
	v_mov_b32_e32 v8, v34
	v_cmp_lt_i32_e64 s[20:21], v11, v16
	v_addc_co_u32_e32 v59, vcc, 0, v10, vcc
	v_mov_b32_e32 v9, v35
	buffer_store_dword v0, off, s[0:3], s33 offset:64 ; 4-byte Folded Spill
	buffer_store_dword v10, off, s[0:3], s33 offset:60 ; 4-byte Folded Spill
	;; [unrolled: 1-line block ×4, first 2 shown]
	s_nop 0
	buffer_store_dword v9, off, s[0:3], s33 offset:76 ; 4-byte Folded Spill
	buffer_store_dword v10, off, s[0:3], s33 offset:80 ; 4-byte Folded Spill
	;; [unrolled: 1-line block ×4, first 2 shown]
	s_nop 0
	buffer_store_dword v25, off, s[0:3], s33 offset:132 ; 4-byte Folded Spill
	buffer_store_dword v50, off, s[0:3], s33 offset:100 ; 4-byte Folded Spill
	buffer_store_dword v22, off, s[0:3], s33 offset:164 ; 4-byte Folded Spill
	s_nop 0
	buffer_store_dword v23, off, s[0:3], s33 offset:168 ; 4-byte Folded Spill
	buffer_store_dword v24, off, s[0:3], s33 offset:172 ; 4-byte Folded Spill
	;; [unrolled: 1-line block ×4, first 2 shown]
	s_nop 0
	buffer_store_dword v49, off, s[0:3], s33 offset:184 ; 4-byte Folded Spill
	s_branch .LBB2_47
.LBB2_45:                               ;   in Loop: Header=BB2_47 Depth=1
	s_or_b64 exec, exec, s[40:41]
.LBB2_46:                               ;   in Loop: Header=BB2_47 Depth=1
	s_or_b64 exec, exec, s[28:29]
	buffer_load_dword v36, off, s[0:3], s33 offset:148 ; 4-byte Folded Reload
	buffer_load_dword v37, off, s[0:3], s33 offset:152 ; 4-byte Folded Reload
	;; [unrolled: 1-line block ×10, first 2 shown]
	s_waitcnt vmcnt(0)
	v_add_co_u32_e32 v36, vcc, v36, v48
	v_addc_co_u32_e32 v37, vcc, v37, v49, vcc
	v_cmp_ge_i64_e32 vcc, v[36:37], v[22:23]
	s_or_b64 s[58:59], vcc, s[58:59]
	s_andn2_b64 exec, exec, s[58:59]
	s_cbranch_execz .LBB2_1224
.LBB2_47:                               ; =>This Loop Header: Depth=1
                                        ;     Child Loop BB2_57 Depth 2
                                        ;       Child Loop BB2_65 Depth 3
                                        ;       Child Loop BB2_89 Depth 3
	;; [unrolled: 1-line block ×9, first 2 shown]
                                        ;     Child Loop BB2_199 Depth 2
                                        ;       Child Loop BB2_205 Depth 3
                                        ;       Child Loop BB2_229 Depth 3
	;; [unrolled: 1-line block ×3, first 2 shown]
                                        ;     Child Loop BB2_271 Depth 2
                                        ;       Child Loop BB2_274 Depth 3
                                        ;         Child Loop BB2_282 Depth 4
                                        ;         Child Loop BB2_310 Depth 4
	;; [unrolled: 1-line block ×9, first 2 shown]
                                        ;       Child Loop BB2_420 Depth 3
                                        ;         Child Loop BB2_426 Depth 4
                                        ;         Child Loop BB2_454 Depth 4
	;; [unrolled: 1-line block ×3, first 2 shown]
                                        ;     Child Loop BB2_495 Depth 2
                                        ;       Child Loop BB2_503 Depth 3
                                        ;       Child Loop BB2_531 Depth 3
	;; [unrolled: 1-line block ×4, first 2 shown]
                                        ;         Child Loop BB2_574 Depth 4
                                        ;       Child Loop BB2_580 Depth 3
                                        ;         Child Loop BB2_581 Depth 4
                                        ;       Child Loop BB2_590 Depth 3
                                        ;       Child Loop BB2_595 Depth 3
                                        ;         Child Loop BB2_596 Depth 4
                                        ;       Child Loop BB2_608 Depth 3
                                        ;       Child Loop BB2_613 Depth 3
	;; [unrolled: 1-line block ×6, first 2 shown]
                                        ;     Child Loop BB2_677 Depth 2
                                        ;       Child Loop BB2_683 Depth 3
                                        ;       Child Loop BB2_711 Depth 3
	;; [unrolled: 1-line block ×3, first 2 shown]
                                        ;     Child Loop BB2_753 Depth 2
                                        ;       Child Loop BB2_756 Depth 3
                                        ;         Child Loop BB2_764 Depth 4
                                        ;         Child Loop BB2_792 Depth 4
	;; [unrolled: 1-line block ×4, first 2 shown]
                                        ;           Child Loop BB2_835 Depth 5
                                        ;         Child Loop BB2_841 Depth 4
                                        ;           Child Loop BB2_842 Depth 5
                                        ;         Child Loop BB2_851 Depth 4
                                        ;         Child Loop BB2_856 Depth 4
                                        ;           Child Loop BB2_857 Depth 5
                                        ;         Child Loop BB2_869 Depth 4
                                        ;         Child Loop BB2_874 Depth 4
	;; [unrolled: 1-line block ×6, first 2 shown]
                                        ;       Child Loop BB2_938 Depth 3
                                        ;         Child Loop BB2_944 Depth 4
                                        ;         Child Loop BB2_972 Depth 4
                                        ;         Child Loop BB2_995 Depth 4
                                        ;     Child Loop BB2_1017 Depth 2
                                        ;       Child Loop BB2_1025 Depth 3
                                        ;       Child Loop BB2_1049 Depth 3
	;; [unrolled: 1-line block ×9, first 2 shown]
                                        ;     Child Loop BB2_1158 Depth 2
                                        ;       Child Loop BB2_1164 Depth 3
                                        ;       Child Loop BB2_1188 Depth 3
	;; [unrolled: 1-line block ×3, first 2 shown]
	v_sub_co_u32_e32 v8, vcc, v22, v36
	v_subb_co_u32_e32 v9, vcc, v23, v37, vcc
	buffer_store_dword v8, off, s[0:3], s33 offset:108 ; 4-byte Folded Spill
	s_nop 0
	buffer_store_dword v9, off, s[0:3], s33 offset:112 ; 4-byte Folded Spill
	v_cmp_lt_i64_e32 vcc, v[8:9], v[48:49]
	s_and_saveexec_b64 s[28:29], vcc
	s_cbranch_execz .LBB2_53
; %bb.48:                               ;   in Loop: Header=BB2_47 Depth=1
	buffer_load_dword v8, off, s[0:3], s33 offset:108 ; 4-byte Folded Reload
	buffer_load_dword v9, off, s[0:3], s33 offset:112 ; 4-byte Folded Reload
	v_mov_b32_e32 v3, s64
	s_waitcnt vmcnt(0)
	v_add_co_u32_e32 v0, vcc, s55, v8
	s_waitcnt vmcnt(0)
	v_addc_co_u32_e32 v10, vcc, v3, v9, vcc
	v_or_b32_e32 v3, s53, v10
	v_cmp_ne_u64_e32 vcc, 0, v[2:3]
                                        ; implicit-def: $vgpr8_vgpr9
	s_and_saveexec_b64 s[26:27], vcc
	s_xor_b64 s[40:41], exec, s[26:27]
	s_cbranch_execz .LBB2_50
; %bb.49:                               ;   in Loop: Header=BB2_47 Depth=1
	s_add_u32 s26, s52, s74
	s_mov_b32 s75, s74
	s_addc_u32 s27, s53, s74
	s_xor_b64 s[42:43], s[26:27], s[74:75]
	v_cvt_f32_u32_e32 v3, s42
	v_cvt_f32_u32_e32 v8, s43
	s_sub_u32 s75, 0, s42
	s_subb_u32 s76, 0, s43
	v_mac_f32_e32 v3, 0x4f800000, v8
	v_rcp_f32_e32 v3, v3
	v_mul_f32_e32 v3, 0x5f7ffffc, v3
	v_mul_f32_e32 v8, 0x2f800000, v3
	v_trunc_f32_e32 v8, v8
	v_mac_f32_e32 v3, 0xcf800000, v8
	v_cvt_u32_f32_e32 v8, v8
	v_cvt_u32_f32_e32 v3, v3
	v_readfirstlane_b32 s77, v8
	v_readfirstlane_b32 s26, v3
	s_mul_i32 s27, s75, s77
	s_mul_hi_u32 s79, s75, s26
	s_mul_i32 s78, s76, s26
	s_add_i32 s27, s79, s27
	s_add_i32 s27, s27, s78
	s_mul_i32 s88, s75, s26
	s_mul_i32 s79, s26, s27
	s_mul_hi_u32 s89, s26, s88
	s_mul_hi_u32 s78, s26, s27
	s_add_u32 s79, s89, s79
	s_addc_u32 s78, 0, s78
	s_mul_hi_u32 s90, s77, s88
	s_mul_i32 s88, s77, s88
	s_add_u32 s79, s79, s88
	s_mul_hi_u32 s89, s77, s27
	s_addc_u32 s78, s78, s90
	s_addc_u32 s79, s89, 0
	s_mul_i32 s27, s77, s27
	s_add_u32 s27, s78, s27
	s_addc_u32 s78, 0, s79
	s_add_u32 s79, s26, s27
	s_cselect_b64 s[26:27], -1, 0
	s_cmp_lg_u64 s[26:27], 0
	s_addc_u32 s77, s77, s78
	s_mul_i32 s26, s75, s77
	s_mul_hi_u32 s27, s75, s79
	s_add_i32 s26, s27, s26
	s_mul_i32 s76, s76, s79
	s_add_i32 s26, s26, s76
	s_mul_i32 s75, s75, s79
	s_mul_hi_u32 s76, s77, s75
	s_mul_i32 s78, s77, s75
	s_mul_i32 s89, s79, s26
	s_mul_hi_u32 s75, s79, s75
	s_mul_hi_u32 s88, s79, s26
	s_add_u32 s75, s75, s89
	s_addc_u32 s88, 0, s88
	s_add_u32 s75, s75, s78
	s_mul_hi_u32 s27, s77, s26
	s_addc_u32 s75, s88, s76
	s_addc_u32 s27, s27, 0
	s_mul_i32 s26, s77, s26
	s_add_u32 s26, s75, s26
	s_addc_u32 s75, 0, s27
	s_add_u32 s76, s79, s26
	s_cselect_b64 s[26:27], -1, 0
	v_ashrrev_i32_e32 v3, 31, v10
	s_cmp_lg_u64 s[26:27], 0
	v_add_co_u32_e32 v0, vcc, v0, v3
	s_addc_u32 s75, s77, s75
	v_xor_b32_e32 v0, v0, v3
	v_mad_u64_u32 v[8:9], s[26:27], v0, s75, 0
	v_mul_hi_u32 v11, v0, s76
	v_addc_co_u32_e32 v10, vcc, v10, v3, vcc
	v_xor_b32_e32 v14, v10, v3
	v_add_co_u32_e32 v15, vcc, v11, v8
	v_addc_co_u32_e32 v16, vcc, 0, v9, vcc
	v_mad_u64_u32 v[8:9], s[26:27], v14, s76, 0
	v_mad_u64_u32 v[10:11], s[26:27], v14, s75, 0
	v_add_co_u32_e32 v8, vcc, v15, v8
	v_addc_co_u32_e32 v8, vcc, v16, v9, vcc
	v_addc_co_u32_e32 v9, vcc, 0, v11, vcc
	v_add_co_u32_e32 v10, vcc, v8, v10
	v_addc_co_u32_e32 v11, vcc, 0, v9, vcc
	v_mul_lo_u32 v15, s43, v10
	v_mul_lo_u32 v16, s42, v11
	v_mad_u64_u32 v[8:9], s[26:27], s42, v10, 0
	v_xor_b32_e32 v3, s74, v3
	v_add3_u32 v9, v9, v16, v15
	v_sub_u32_e32 v15, v14, v9
	v_mov_b32_e32 v16, s43
	v_sub_co_u32_e32 v0, vcc, v0, v8
	v_subb_co_u32_e64 v8, s[26:27], v15, v16, vcc
	v_subrev_co_u32_e64 v15, s[26:27], s42, v0
	v_subbrev_co_u32_e64 v8, s[26:27], 0, v8, s[26:27]
	v_cmp_le_u32_e64 s[26:27], s43, v8
	v_cndmask_b32_e64 v16, 0, -1, s[26:27]
	v_cmp_le_u32_e64 s[26:27], s42, v15
	v_cndmask_b32_e64 v15, 0, -1, s[26:27]
	v_cmp_eq_u32_e64 s[26:27], s43, v8
	v_cndmask_b32_e64 v8, v16, v15, s[26:27]
	v_add_co_u32_e64 v15, s[26:27], 2, v10
	v_subb_co_u32_e32 v9, vcc, v14, v9, vcc
	v_addc_co_u32_e64 v16, s[26:27], 0, v11, s[26:27]
	v_cmp_le_u32_e32 vcc, s43, v9
	v_add_co_u32_e64 v17, s[26:27], 1, v10
	v_cndmask_b32_e64 v14, 0, -1, vcc
	v_cmp_le_u32_e32 vcc, s42, v0
	v_addc_co_u32_e64 v18, s[26:27], 0, v11, s[26:27]
	v_cndmask_b32_e64 v0, 0, -1, vcc
	v_cmp_eq_u32_e32 vcc, s43, v9
	v_cmp_ne_u32_e64 s[26:27], 0, v8
	v_cndmask_b32_e32 v0, v14, v0, vcc
	v_cndmask_b32_e64 v8, v18, v16, s[26:27]
	v_cmp_ne_u32_e32 vcc, 0, v0
	v_cndmask_b32_e32 v0, v11, v8, vcc
	v_cndmask_b32_e64 v8, v17, v15, s[26:27]
	v_cndmask_b32_e32 v8, v10, v8, vcc
	v_xor_b32_e32 v8, v8, v3
	v_xor_b32_e32 v0, v0, v3
	v_sub_co_u32_e32 v8, vcc, v8, v3
	v_subb_co_u32_e32 v9, vcc, v0, v3, vcc
                                        ; implicit-def: $vgpr0
.LBB2_50:                               ;   in Loop: Header=BB2_47 Depth=1
	s_andn2_saveexec_b64 s[40:41], s[40:41]
	s_cbranch_execz .LBB2_52
; %bb.51:                               ;   in Loop: Header=BB2_47 Depth=1
	v_cvt_f32_u32_e32 v3, s52
	s_sub_i32 s26, 0, s52
	v_mov_b32_e32 v9, v2
	v_rcp_iflag_f32_e32 v3, v3
	v_mul_f32_e32 v3, 0x4f7ffffe, v3
	v_cvt_u32_f32_e32 v3, v3
	v_mul_lo_u32 v8, s26, v3
	v_mul_hi_u32 v8, v3, v8
	v_add_u32_e32 v3, v3, v8
	v_mul_hi_u32 v3, v0, v3
	v_mul_lo_u32 v8, v3, s52
	v_sub_u32_e32 v0, v0, v8
	v_cmp_le_u32_e32 vcc, s52, v0
	v_subrev_u32_e32 v8, s52, v0
	v_cndmask_b32_e32 v0, v0, v8, vcc
	v_cmp_le_u32_e64 s[26:27], s52, v0
	v_add_u32_e32 v0, 1, v3
	v_cndmask_b32_e32 v0, v3, v0, vcc
	v_add_u32_e32 v3, 1, v0
	v_cndmask_b32_e64 v8, v0, v3, s[26:27]
.LBB2_52:                               ;   in Loop: Header=BB2_47 Depth=1
	s_or_b64 exec, exec, s[40:41]
	v_add_co_u32_e32 v0, vcc, 3, v8
	v_addc_co_u32_e32 v9, vcc, 0, v9, vcc
	v_and_b32_e32 v8, -4, v0
	buffer_store_dword v8, off, s[0:3], s33 offset:116 ; 4-byte Folded Spill
	s_nop 0
	buffer_store_dword v9, off, s[0:3], s33 offset:120 ; 4-byte Folded Spill
.LBB2_53:                               ;   in Loop: Header=BB2_47 Depth=1
	s_or_b64 exec, exec, s[28:29]
	buffer_store_dword v36, off, s[0:3], s33 offset:148 ; 4-byte Folded Spill
	s_nop 0
	buffer_store_dword v37, off, s[0:3], s33 offset:152 ; 4-byte Folded Spill
	buffer_load_dword v14, off, s[0:3], s33 offset:116 ; 4-byte Folded Reload
	buffer_load_dword v15, off, s[0:3], s33 offset:120 ; 4-byte Folded Reload
	;; [unrolled: 1-line block ×6, first 2 shown]
	s_waitcnt vmcnt(0)
	v_mul_lo_u32 v3, v14, s67
	s_waitcnt vmcnt(1)
	v_add_co_u32_e32 v22, vcc, v10, v8
	s_waitcnt vmcnt(0)
	v_addc_co_u32_e32 v23, vcc, v11, v9, vcc
	buffer_load_dword v8, off, s[0:3], s33 offset:108 ; 4-byte Folded Reload
	buffer_load_dword v9, off, s[0:3], s33 offset:112 ; 4-byte Folded Reload
	v_mul_lo_u32 v0, v15, s66
	v_mad_u64_u32 v[52:53], s[26:27], v14, s66, 0
	v_mov_b32_e32 v10, 0
	v_add3_u32 v53, v53, v3, v0
	v_mov_b32_e32 v0, 0
	s_waitcnt vmcnt(0)
	v_sub_co_u32_e32 v8, vcc, v8, v52
	s_waitcnt vmcnt(0)
	v_subb_co_u32_e32 v9, vcc, v9, v53, vcc
	v_cmp_lt_i64_e32 vcc, v[14:15], v[8:9]
	v_cndmask_b32_e32 v3, v8, v14, vcc
	v_max_i32_e32 v44, 0, v3
	v_add_u32_e32 v8, 31, v44
	v_lshrrev_b32_e32 v8, 1, v8
	v_and_b32_e32 v8, 0x3ffffff0, v8
	v_max_i32_e32 v8, s68, v8
	v_cmp_lt_i32_e32 vcc, 0, v3
	s_and_b64 s[26:27], s[72:73], vcc
	s_mov_b64 s[28:29], exec
	s_and_b64 s[26:27], s[28:29], s[26:27]
	buffer_store_dword v22, off, s[0:3], s33 offset:92 ; 4-byte Folded Spill
	s_nop 0
	buffer_store_dword v23, off, s[0:3], s33 offset:96 ; 4-byte Folded Spill
	s_mov_b64 exec, s[26:27]
	s_cbranch_execz .LBB2_195
; %bb.54:                               ;   in Loop: Header=BB2_47 Depth=1
	v_lshlrev_b64 v[56:57], 2, v[52:53]
	s_mov_b32 s75, 1
	s_mov_b64 s[42:43], -1
	v_mov_b32_e32 v10, 0
	s_mov_b64 s[40:41], 0
	s_branch .LBB2_57
.LBB2_55:                               ;   in Loop: Header=BB2_57 Depth=2
	s_or_b64 exec, exec, s[76:77]
	v_add_co_u32_e32 v38, vcc, 2, v38
	v_addc_co_u32_e32 v39, vcc, 0, v39, vcc
	flat_store_dwordx2 v[20:21], v[38:39]
.LBB2_56:                               ;   in Loop: Header=BB2_57 Depth=2
	s_or_b64 exec, exec, s[26:27]
	v_add_u32_e32 v10, v8, v10
	v_cmp_ge_i32_e32 vcc, v10, v44
	s_xor_b64 s[26:27], s[42:43], -1
	s_or_b64 s[26:27], s[26:27], vcc
	s_and_b64 s[26:27], exec, s[26:27]
	s_or_b64 s[40:41], s[26:27], s[40:41]
	s_mov_b64 s[42:43], 0
	v_mov_b32_e32 v0, s75
	s_mov_b32 s75, 2
	s_andn2_b64 exec, exec, s[40:41]
	s_cbranch_execz .LBB2_194
.LBB2_57:                               ;   Parent Loop BB2_47 Depth=1
                                        ; =>  This Loop Header: Depth=2
                                        ;       Child Loop BB2_65 Depth 3
                                        ;       Child Loop BB2_89 Depth 3
	;; [unrolled: 1-line block ×9, first 2 shown]
	s_and_saveexec_b64 s[26:27], s[4:5]
	s_cbranch_execz .LBB2_59
; %bb.58:                               ;   in Loop: Header=BB2_57 Depth=2
	s_trap 2
	s_waitcnt vmcnt(0)
	ds_read_b64 v[14:15], v0
	v_lshlrev_b64 v[16:17], 2, v[22:23]
	v_ashrrev_i32_e32 v11, 31, v10
	s_waitcnt lgkmcnt(0)
	v_add_co_u32_e32 v0, vcc, v14, v16
	v_addc_co_u32_e32 v3, vcc, v15, v17, vcc
	v_add_co_u32_e32 v0, vcc, v0, v56
	v_lshlrev_b64 v[14:15], 2, v[10:11]
	v_addc_co_u32_e32 v3, vcc, v3, v57, vcc
	v_add_co_u32_e32 v14, vcc, v0, v14
	v_addc_co_u32_e32 v15, vcc, v3, v15, vcc
	v_mov_b32_e32 v3, v2
	ds_write_b64 v0, v[14:15]
	ds_write_b64 v0, v[2:3]
.LBB2_59:                               ;   in Loop: Header=BB2_57 Depth=2
	s_or_b64 exec, exec, s[26:27]
	v_sub_u32_e32 v0, v44, v10
	v_min_i32_e32 v8, v8, v0
	v_and_b32_e32 v0, 8, v60
	v_cmp_ne_u32_e32 vcc, 0, v0
	s_and_saveexec_b64 s[76:77], vcc
	s_cbranch_execz .LBB2_81
; %bb.60:                               ;   in Loop: Header=BB2_57 Depth=2
	s_waitcnt vmcnt(0) lgkmcnt(0)
	v_add_co_u32_e32 v14, vcc, 8, v26
	v_addc_co_u32_e32 v15, vcc, 0, v27, vcc
	v_add_co_u32_e32 v54, vcc, 2, v38
	v_addc_co_u32_e32 v55, vcc, 0, v39, vcc
	v_cmp_lt_u64_e32 vcc, v[14:15], v[54:55]
	s_and_saveexec_b64 s[78:79], vcc
	s_cbranch_execz .LBB2_72
; %bb.61:                               ;   in Loop: Header=BB2_57 Depth=2
	v_and_b32_e32 v0, 64, v60
	s_mov_b32 s50, 0
	v_cmp_eq_u32_e32 vcc, 0, v0
	s_mov_b64 s[88:89], 0
                                        ; implicit-def: $sgpr90_sgpr91
                                        ; implicit-def: $sgpr92_sgpr93
                                        ; implicit-def: $sgpr94_sgpr95
	s_branch .LBB2_65
.LBB2_62:                               ;   in Loop: Header=BB2_65 Depth=3
	s_waitcnt vmcnt(0) lgkmcnt(0)
	v_add_co_u32_e64 v14, s[26:27], 8, v26
	v_addc_co_u32_e64 v15, s[26:27], 0, v27, s[26:27]
	v_cmp_ge_u64_e64 s[26:27], v[14:15], v[54:55]
	s_or_b64 s[36:37], s[36:37], exec
	s_orn2_b64 s[34:35], s[26:27], exec
.LBB2_63:                               ;   in Loop: Header=BB2_65 Depth=3
	s_or_b64 exec, exec, s[48:49]
	s_andn2_b64 s[26:27], s[94:95], exec
	s_and_b64 s[94:95], s[36:37], exec
	s_or_b64 s[94:95], s[26:27], s[94:95]
	s_andn2_b64 s[26:27], s[92:93], exec
	s_and_b64 s[92:93], s[34:35], exec
	s_or_b64 s[92:93], s[26:27], s[92:93]
.LBB2_64:                               ;   in Loop: Header=BB2_65 Depth=3
	s_or_b64 exec, exec, s[30:31]
	s_and_b64 s[26:27], exec, s[92:93]
	s_or_b64 s[88:89], s[26:27], s[88:89]
	s_andn2_b64 s[26:27], s[90:91], exec
	s_and_b64 s[90:91], s[94:95], exec
	s_or_b64 s[90:91], s[26:27], s[90:91]
	s_andn2_b64 exec, exec, s[88:89]
	s_cbranch_execz .LBB2_69
.LBB2_65:                               ;   Parent Loop BB2_47 Depth=1
                                        ;     Parent Loop BB2_57 Depth=2
                                        ; =>    This Inner Loop Header: Depth=3
	s_sleep 1
	s_waitcnt vmcnt(0) lgkmcnt(0)
	flat_load_dwordx2 v[26:27], v[20:21] glc
	s_or_b64 s[94:95], s[94:95], exec
	s_or_b64 s[92:93], s[92:93], exec
                                        ; implicit-def: $vgpr0
	s_and_saveexec_b64 s[30:31], vcc
	s_cbranch_execz .LBB2_64
; %bb.66:                               ;   in Loop: Header=BB2_65 Depth=3
	s_cmpk_lt_i32 s50, 0x270f
	s_cselect_b64 s[38:39], -1, 0
	s_cmpk_gt_i32 s50, 0x270e
	s_mov_b64 s[34:35], -1
	s_cbranch_scc0 .LBB2_68
; %bb.67:                               ;   in Loop: Header=BB2_65 Depth=3
	s_trap 2
	ds_read_b64 v[14:15], v0
	s_andn2_b64 s[38:39], s[38:39], exec
	s_mov_b32 s50, 0
	s_mov_b64 s[36:37], 0
	s_waitcnt vmcnt(0) lgkmcnt(0)
	flat_load_dword v0, v[14:15] glc
	s_waitcnt vmcnt(0) lgkmcnt(0)
	buffer_wbinvl1_vol
	v_cmp_eq_u32_e64 s[26:27], 0, v0
	s_and_b64 s[26:27], s[26:27], exec
	s_or_b64 s[38:39], s[38:39], s[26:27]
	s_and_saveexec_b64 s[48:49], s[38:39]
	s_cbranch_execz .LBB2_63
	s_branch .LBB2_62
.LBB2_68:                               ;   in Loop: Header=BB2_65 Depth=3
	s_add_i32 s50, s50, 1
	s_mov_b64 s[36:37], -1
                                        ; implicit-def: $vgpr0
	s_and_saveexec_b64 s[48:49], s[38:39]
	s_cbranch_execz .LBB2_63
	s_branch .LBB2_62
.LBB2_69:                               ;   in Loop: Header=BB2_57 Depth=2
	s_or_b64 exec, exec, s[88:89]
	s_xor_b64 s[26:27], s[90:91], -1
	s_and_saveexec_b64 s[88:89], s[26:27]
	s_xor_b64 s[26:27], exec, s[88:89]
	s_cbranch_execz .LBB2_71
; %bb.70:                               ;   in Loop: Header=BB2_57 Depth=2
	v_or_b32_e32 v60, 64, v60
	s_waitcnt lgkmcnt(0)
	ds_write_b32 v0, v0
	s_trap 2
.LBB2_71:                               ;   in Loop: Header=BB2_57 Depth=2
	s_or_b64 exec, exec, s[26:27]
.LBB2_72:                               ;   in Loop: Header=BB2_57 Depth=2
	s_or_b64 exec, exec, s[78:79]
	v_and_b32_e32 v0, 0x100, v60
	v_cmp_ne_u32_e32 vcc, 0, v0
	v_and_b32_e32 v0, 7, v38
	s_mov_b64 s[26:27], -1
	;;#ASMSTART
	s_wakeup
	;;#ASMEND
                                        ; implicit-def: $vgpr38_vgpr39
	s_and_saveexec_b64 s[78:79], vcc
	s_cbranch_execz .LBB2_76
; %bb.73:                               ;   in Loop: Header=BB2_57 Depth=2
	v_mad_u64_u32 v[40:41], s[26:27], v0, 24, v[34:35]
	v_ashrrev_i32_e32 v9, 31, v8
	v_lshlrev_b64 v[14:15], 2, v[8:9]
	flat_load_dword v3, v[40:41]
                                        ; implicit-def: $vgpr38_vgpr39
	s_waitcnt vmcnt(0) lgkmcnt(0)
	v_cmp_ne_u32_e32 vcc, 1, v3
	v_cmp_eq_u32_e64 s[26:27], 1, v3
	flat_store_dwordx2 v[40:41], v[14:15] offset:8
	s_and_saveexec_b64 s[88:89], s[26:27]
	s_cbranch_execz .LBB2_75
; %bb.74:                               ;   in Loop: Header=BB2_57 Depth=2
	flat_load_dword v14, v[40:41] offset:4 glc
	s_waitcnt vmcnt(0) lgkmcnt(0)
	v_ashrrev_i32_e32 v15, 31, v14
	v_lshrrev_b64 v[38:39], 2, v[14:15]
.LBB2_75:                               ;   in Loop: Header=BB2_57 Depth=2
	s_or_b64 exec, exec, s[88:89]
	s_orn2_b64 s[26:27], vcc, exec
.LBB2_76:                               ;   in Loop: Header=BB2_57 Depth=2
	s_or_b64 exec, exec, s[78:79]
	s_and_saveexec_b64 s[78:79], s[26:27]
; %bb.77:                               ;   in Loop: Header=BB2_57 Depth=2
	v_mad_i64_i32 v[38:39], s[26:27], v0, v61, 0
; %bb.78:                               ;   in Loop: Header=BB2_57 Depth=2
	s_or_b64 exec, exec, s[78:79]
	v_lshlrev_b64 v[14:15], 2, v[38:39]
	v_add_co_u32_e32 v14, vcc, v6, v14
	v_addc_co_u32_e32 v15, vcc, v7, v15, vcc
	ds_write_b64 v0, v[14:15] offset:784
	v_and_b32_e32 v0, 0x2000, v60
	v_cmp_ne_u32_e32 vcc, 0, v0
	s_and_saveexec_b64 s[26:27], vcc
	s_cbranch_execz .LBB2_80
; %bb.79:                               ;   in Loop: Header=BB2_57 Depth=2
	ds_read_b64 v[14:15], v0 offset:872
	s_waitcnt lgkmcnt(0)
	v_add_co_u32_e32 v14, vcc, 1, v14
	v_addc_co_u32_e32 v15, vcc, 0, v15, vcc
	ds_write_b64 v0, v[14:15] offset:872
.LBB2_80:                               ;   in Loop: Header=BB2_57 Depth=2
	s_or_b64 exec, exec, s[26:27]
	v_mov_b32_e32 v38, v54
	v_mov_b32_e32 v39, v55
.LBB2_81:                               ;   in Loop: Header=BB2_57 Depth=2
	s_or_b64 exec, exec, s[76:77]
	s_and_saveexec_b64 s[26:27], s[10:11]
	s_cbranch_execz .LBB2_100
; %bb.82:                               ;   in Loop: Header=BB2_57 Depth=2
	s_and_saveexec_b64 s[76:77], s[56:57]
	s_xor_b64 s[76:77], exec, s[76:77]
	s_cbranch_execz .LBB2_97
; %bb.83:                               ;   in Loop: Header=BB2_57 Depth=2
	s_and_saveexec_b64 s[78:79], s[16:17]
	s_cbranch_execz .LBB2_96
; %bb.84:                               ;   in Loop: Header=BB2_57 Depth=2
	s_mov_b64 s[90:91], exec
	v_mbcnt_lo_u32_b32 v0, s90, 0
	v_mbcnt_hi_u32_b32 v0, s91, v0
	v_cmp_eq_u32_e32 vcc, 0, v0
	s_waitcnt vmcnt(0) lgkmcnt(0)
	buffer_wbinvl1_vol
	s_and_saveexec_b64 s[88:89], vcc
	s_cbranch_execz .LBB2_86
; %bb.85:                               ;   in Loop: Header=BB2_57 Depth=2
	s_bcnt1_i32_b64 s90, s[90:91]
	v_mov_b32_e32 v14, s90
	v_mov_b32_e32 v15, v2
	ds_add_u64 v0, v[14:15]
	s_trap 2
.LBB2_86:                               ;   in Loop: Header=BB2_57 Depth=2
	s_or_b64 exec, exec, s[88:89]
	s_trap 2
	ds_read_b64 v[14:15], v0
	s_waitcnt lgkmcnt(0)
	v_add_co_u32_e32 v12, vcc, v12, v62
	v_addc_co_u32_e32 v13, vcc, 0, v13, vcc
	v_cmp_lt_u64_e32 vcc, v[14:15], v[12:13]
	s_and_saveexec_b64 s[88:89], vcc
	s_cbranch_execz .LBB2_95
; %bb.87:                               ;   in Loop: Header=BB2_57 Depth=2
	s_mov_b32 s36, 0
	s_mov_b64 s[90:91], 0
                                        ; implicit-def: $sgpr92_sgpr93
                                        ; implicit-def: $sgpr94_sgpr95
	s_branch .LBB2_89
.LBB2_88:                               ;   in Loop: Header=BB2_89 Depth=3
	s_or_b64 exec, exec, s[34:35]
	s_and_b64 vcc, exec, vcc
	s_or_b64 s[90:91], vcc, s[90:91]
	s_andn2_b64 s[92:93], s[92:93], exec
	s_and_b64 vcc, s[94:95], exec
	s_or_b64 s[92:93], s[92:93], vcc
	s_andn2_b64 exec, exec, s[90:91]
	s_cbranch_execz .LBB2_93
.LBB2_89:                               ;   Parent Loop BB2_47 Depth=1
                                        ;     Parent Loop BB2_57 Depth=2
                                        ; =>    This Inner Loop Header: Depth=3
	s_add_i32 s36, s36, 1
	s_cmpk_lg_i32 s36, 0x2710
	s_cselect_b64 s[30:31], -1, 0
	s_and_b64 vcc, exec, s[30:31]
	s_cbranch_vccz .LBB2_91
; %bb.90:                               ;   in Loop: Header=BB2_89 Depth=3
	s_mov_b64 vcc, -1
	s_or_b64 s[94:95], s[94:95], exec
	s_and_saveexec_b64 s[34:35], s[30:31]
	s_cbranch_execz .LBB2_88
	s_branch .LBB2_92
.LBB2_91:                               ;   in Loop: Header=BB2_89 Depth=3
	s_trap 2
	ds_read_b64 v[14:15], v0
	s_andn2_b64 s[30:31], s[30:31], exec
	s_mov_b32 s36, 0
	s_waitcnt lgkmcnt(0)
	flat_load_dword v0, v[14:15] glc
	s_waitcnt vmcnt(0) lgkmcnt(0)
	buffer_wbinvl1_vol
	v_cmp_eq_u32_e32 vcc, 0, v0
	s_and_b64 vcc, vcc, exec
	s_or_b64 s[30:31], s[30:31], vcc
	s_mov_b64 vcc, -1
	s_or_b64 s[94:95], s[94:95], exec
	s_and_saveexec_b64 s[34:35], s[30:31]
	s_cbranch_execz .LBB2_88
.LBB2_92:                               ;   in Loop: Header=BB2_89 Depth=3
	s_sleep 1
	s_trap 2
	ds_read_b64 v[14:15], v0
	s_waitcnt lgkmcnt(0)
	s_andn2_b64 s[94:95], s[94:95], exec
	v_cmp_ge_u64_e32 vcc, v[14:15], v[12:13]
	s_orn2_b64 vcc, vcc, exec
	s_branch .LBB2_88
.LBB2_93:                               ;   in Loop: Header=BB2_57 Depth=2
	s_or_b64 exec, exec, s[90:91]
	s_and_saveexec_b64 s[90:91], s[92:93]
	s_xor_b64 s[90:91], exec, s[90:91]
	s_cbranch_execz .LBB2_95
; %bb.94:                               ;   in Loop: Header=BB2_57 Depth=2
	ds_write_b32 v0, v28
	s_trap 2
.LBB2_95:                               ;   in Loop: Header=BB2_57 Depth=2
	s_or_b64 exec, exec, s[88:89]
	;;#ASMSTART
	s_wakeup
	;;#ASMEND
.LBB2_96:                               ;   in Loop: Header=BB2_57 Depth=2
	s_or_b64 exec, exec, s[78:79]
.LBB2_97:                               ;   in Loop: Header=BB2_57 Depth=2
	s_andn2_saveexec_b64 s[76:77], s[76:77]
	s_cbranch_execz .LBB2_99
; %bb.98:                               ;   in Loop: Header=BB2_57 Depth=2
	s_waitcnt vmcnt(0) lgkmcnt(0)
	buffer_wbinvl1_vol
	s_barrier
.LBB2_99:                               ;   in Loop: Header=BB2_57 Depth=2
	s_or_b64 exec, exec, s[76:77]
.LBB2_100:                              ;   in Loop: Header=BB2_57 Depth=2
	s_or_b64 exec, exec, s[26:27]
	s_trap 2
	ds_read_b32 v0, v0
	v_and_b32_e32 v3, 0x4000, v60
	v_cmp_ne_u32_e32 vcc, 0, v3
	s_xor_b64 s[26:27], s[6:7], -1
	s_and_b64 s[76:77], s[26:27], vcc
	s_and_saveexec_b64 s[26:27], s[76:77]
	s_cbranch_execz .LBB2_119
; %bb.101:                              ;   in Loop: Header=BB2_57 Depth=2
	s_and_saveexec_b64 s[76:77], s[56:57]
	s_xor_b64 s[76:77], exec, s[76:77]
	s_cbranch_execz .LBB2_116
; %bb.102:                              ;   in Loop: Header=BB2_57 Depth=2
	s_and_saveexec_b64 s[78:79], s[16:17]
	s_cbranch_execz .LBB2_115
; %bb.103:                              ;   in Loop: Header=BB2_57 Depth=2
	s_mov_b64 s[90:91], exec
	v_mbcnt_lo_u32_b32 v3, s90, 0
	v_mbcnt_hi_u32_b32 v3, s91, v3
	v_cmp_eq_u32_e32 vcc, 0, v3
	s_waitcnt vmcnt(0) lgkmcnt(0)
	buffer_wbinvl1_vol
	s_and_saveexec_b64 s[88:89], vcc
	s_cbranch_execz .LBB2_105
; %bb.104:                              ;   in Loop: Header=BB2_57 Depth=2
	s_bcnt1_i32_b64 s90, s[90:91]
	v_mov_b32_e32 v14, s90
	v_mov_b32_e32 v15, v2
	ds_add_u64 v0, v[14:15]
	s_trap 2
.LBB2_105:                              ;   in Loop: Header=BB2_57 Depth=2
	s_or_b64 exec, exec, s[88:89]
	s_trap 2
	ds_read_b64 v[14:15], v0
	s_waitcnt lgkmcnt(0)
	v_add_co_u32_e32 v12, vcc, v12, v62
	v_addc_co_u32_e32 v13, vcc, 0, v13, vcc
	v_cmp_lt_u64_e32 vcc, v[14:15], v[12:13]
	s_and_saveexec_b64 s[88:89], vcc
	s_cbranch_execz .LBB2_114
; %bb.106:                              ;   in Loop: Header=BB2_57 Depth=2
	s_mov_b32 s36, 0
	s_mov_b64 s[90:91], 0
                                        ; implicit-def: $sgpr92_sgpr93
                                        ; implicit-def: $sgpr94_sgpr95
	s_branch .LBB2_108
.LBB2_107:                              ;   in Loop: Header=BB2_108 Depth=3
	s_or_b64 exec, exec, s[34:35]
	s_and_b64 vcc, exec, vcc
	s_or_b64 s[90:91], vcc, s[90:91]
	s_andn2_b64 s[92:93], s[92:93], exec
	s_and_b64 vcc, s[94:95], exec
	s_or_b64 s[92:93], s[92:93], vcc
	s_andn2_b64 exec, exec, s[90:91]
	s_cbranch_execz .LBB2_112
.LBB2_108:                              ;   Parent Loop BB2_47 Depth=1
                                        ;     Parent Loop BB2_57 Depth=2
                                        ; =>    This Inner Loop Header: Depth=3
	s_add_i32 s36, s36, 1
	s_cmpk_lg_i32 s36, 0x2710
	s_cselect_b64 s[30:31], -1, 0
	s_and_b64 vcc, exec, s[30:31]
	s_cbranch_vccz .LBB2_110
; %bb.109:                              ;   in Loop: Header=BB2_108 Depth=3
	s_mov_b64 vcc, -1
	s_or_b64 s[94:95], s[94:95], exec
	s_and_saveexec_b64 s[34:35], s[30:31]
	s_cbranch_execz .LBB2_107
	s_branch .LBB2_111
.LBB2_110:                              ;   in Loop: Header=BB2_108 Depth=3
	s_trap 2
	ds_read_b64 v[14:15], v0
	s_andn2_b64 s[30:31], s[30:31], exec
	s_mov_b32 s36, 0
	s_waitcnt lgkmcnt(0)
	flat_load_dword v3, v[14:15] glc
	s_waitcnt vmcnt(0) lgkmcnt(0)
	buffer_wbinvl1_vol
	v_cmp_eq_u32_e32 vcc, 0, v3
	s_and_b64 vcc, vcc, exec
	s_or_b64 s[30:31], s[30:31], vcc
	s_mov_b64 vcc, -1
	s_or_b64 s[94:95], s[94:95], exec
	s_and_saveexec_b64 s[34:35], s[30:31]
	s_cbranch_execz .LBB2_107
.LBB2_111:                              ;   in Loop: Header=BB2_108 Depth=3
	s_sleep 1
	s_trap 2
	ds_read_b64 v[14:15], v0
	s_waitcnt lgkmcnt(0)
	s_andn2_b64 s[94:95], s[94:95], exec
	v_cmp_ge_u64_e32 vcc, v[14:15], v[12:13]
	s_orn2_b64 vcc, vcc, exec
	s_branch .LBB2_107
.LBB2_112:                              ;   in Loop: Header=BB2_57 Depth=2
	s_or_b64 exec, exec, s[90:91]
	s_and_saveexec_b64 s[90:91], s[92:93]
	s_xor_b64 s[90:91], exec, s[90:91]
	s_cbranch_execz .LBB2_114
; %bb.113:                              ;   in Loop: Header=BB2_57 Depth=2
	ds_write_b32 v0, v28
	s_trap 2
.LBB2_114:                              ;   in Loop: Header=BB2_57 Depth=2
	s_or_b64 exec, exec, s[88:89]
	;;#ASMSTART
	s_wakeup
	;;#ASMEND
.LBB2_115:                              ;   in Loop: Header=BB2_57 Depth=2
	s_or_b64 exec, exec, s[78:79]
.LBB2_116:                              ;   in Loop: Header=BB2_57 Depth=2
	s_andn2_saveexec_b64 s[76:77], s[76:77]
	s_cbranch_execz .LBB2_118
; %bb.117:                              ;   in Loop: Header=BB2_57 Depth=2
	s_waitcnt vmcnt(0) lgkmcnt(0)
	buffer_wbinvl1_vol
	s_barrier
.LBB2_118:                              ;   in Loop: Header=BB2_57 Depth=2
	s_or_b64 exec, exec, s[76:77]
.LBB2_119:                              ;   in Loop: Header=BB2_57 Depth=2
	s_or_b64 exec, exec, s[26:27]
	s_trap 2
	s_waitcnt lgkmcnt(0)
	ds_read_b64 v[54:55], v0
	s_waitcnt lgkmcnt(0)
	v_cmp_eq_u64_e32 vcc, 0, v[54:55]
	s_cbranch_vccnz .LBB2_127
; %bb.120:                              ;   in Loop: Header=BB2_57 Depth=2
	s_trap 2
	ds_read_b64 v[40:41], v0
	s_waitcnt lgkmcnt(0)
	v_cmp_eq_u64_e32 vcc, 0, v[40:41]
	s_cbranch_vccnz .LBB2_127
; %bb.121:                              ;   in Loop: Header=BB2_57 Depth=2
	s_mov_b64 s[26:27], -1
	s_and_saveexec_b64 s[76:77], s[18:19]
	s_cbranch_execz .LBB2_123
; %bb.122:                              ;   in Loop: Header=BB2_57 Depth=2
	ds_read_b32 v3, v0 offset:720
	s_waitcnt lgkmcnt(0)
	v_and_b32_e32 v3, 15, v3
	v_cmp_eq_u32_e32 vcc, 0, v3
	s_orn2_b64 s[26:27], vcc, exec
.LBB2_123:                              ;   in Loop: Header=BB2_57 Depth=2
	s_or_b64 exec, exec, s[76:77]
	s_and_saveexec_b64 s[76:77], s[20:21]
	s_cbranch_execz .LBB2_125
; %bb.124:                              ;   in Loop: Header=BB2_57 Depth=2
	ds_read_b32 v3, v0 offset:784
	s_waitcnt lgkmcnt(0)
	v_and_b32_e32 v3, 15, v3
	v_cmp_eq_u32_e32 vcc, 0, v3
	s_and_b64 s[78:79], s[26:27], vcc
	s_andn2_b64 s[26:27], s[26:27], exec
	s_and_b64 s[78:79], s[78:79], exec
	s_or_b64 s[26:27], s[26:27], s[78:79]
.LBB2_125:                              ;   in Loop: Header=BB2_57 Depth=2
	s_or_b64 exec, exec, s[76:77]
	v_cmp_eq_u32_e32 vcc, 0, v0
	s_xor_b64 s[26:27], s[26:27], -1
	v_cndmask_b32_e32 v3, 0, v8, vcc
	v_cndmask_b32_e64 v0, 0, 1, s[26:27]
	v_lshlrev_b32_e32 v9, 2, v3
	s_mov_b64 s[78:79], -1
	v_cmp_ne_u32_e32 vcc, 0, v0
	v_mov_b32_e32 v0, 0
	s_cbranch_vccz .LBB2_128
; %bb.126:                              ;   in Loop: Header=BB2_57 Depth=2
	buffer_load_dword v15, off, s[0:3], s33 offset:68 ; 4-byte Folded Reload
	v_mov_b32_e32 v11, v58
	s_and_saveexec_b64 s[26:27], s[78:79]
	s_cbranch_execnz .LBB2_141
	s_branch .LBB2_149
.LBB2_127:                              ;   in Loop: Header=BB2_57 Depth=2
	s_mov_b64 s[26:27], 0
	s_and_saveexec_b64 s[76:77], s[10:11]
	s_cbranch_execnz .LBB2_150
	s_branch .LBB2_168
.LBB2_128:                              ;   in Loop: Header=BB2_57 Depth=2
	buffer_load_dword v11, off, s[0:3], s33 offset:68 ; 4-byte Folded Reload
	v_ashrrev_i32_e32 v0, 31, v9
	v_lshrrev_b32_e32 v0, 21, v0
	v_add_u32_e32 v0, v9, v0
	v_ashrrev_i32_e32 v0, 11, v0
	s_waitcnt vmcnt(0)
	v_sub_u32_e32 v18, v0, v11
	v_cmp_lt_i32_e32 vcc, 0, v18
	s_and_saveexec_b64 s[26:27], vcc
	s_cbranch_execz .LBB2_132
; %bb.129:                              ;   in Loop: Header=BB2_57 Depth=2
	buffer_load_dword v42, off, s[0:3], s33 offset:136 ; 4-byte Folded Reload
	buffer_load_dword v43, off, s[0:3], s33 offset:140 ; 4-byte Folded Reload
	s_mov_b64 s[76:77], 0
	v_mov_b32_e32 v11, v46
.LBB2_130:                              ;   Parent Loop BB2_47 Depth=1
                                        ;     Parent Loop BB2_57 Depth=2
                                        ; =>    This Inner Loop Header: Depth=3
	s_waitcnt vmcnt(1)
	v_add_co_u32_e32 v14, vcc, v54, v42
	s_waitcnt vmcnt(0)
	v_addc_co_u32_e32 v15, vcc, v55, v43, vcc
	global_load_dwordx4 v[45:48], v[14:15], off glc slc
	global_load_dwordx4 v[49:52], v[14:15], off offset:1024 glc slc
	v_add_co_u32_e32 v14, vcc, v40, v42
	v_addc_co_u32_e32 v15, vcc, v41, v43, vcc
	v_add_co_u32_e32 v42, vcc, v42, v11
	v_sub_u32_e32 v18, v18, v62
	v_addc_co_u32_e32 v43, vcc, 0, v43, vcc
	v_cmp_gt_i32_e32 vcc, 1, v18
	s_or_b64 s[76:77], vcc, s[76:77]
	s_waitcnt vmcnt(1)
	global_store_dwordx4 v[14:15], v[45:48], off glc slc
	s_waitcnt vmcnt(1)
	global_store_dwordx4 v[14:15], v[49:52], off offset:1024 glc slc
	s_andn2_b64 exec, exec, s[76:77]
	s_cbranch_execnz .LBB2_130
; %bb.131:                              ;   in Loop: Header=BB2_57 Depth=2
	s_or_b64 exec, exec, s[76:77]
	buffer_load_dword v50, off, s[0:3], s33 offset:100 ; 4-byte Folded Reload
	v_mov_b32_e32 v51, 0xc8
	v_mov_b32_e32 v46, v11
.LBB2_132:                              ;   in Loop: Header=BB2_57 Depth=2
	s_or_b64 exec, exec, s[26:27]
	v_lshlrev_b32_e32 v14, 11, v0
	v_cmp_ne_u32_e32 vcc, v9, v14
	s_mov_b64 s[78:79], 0
	v_mov_b32_e32 v0, 0
                                        ; implicit-def: $vgpr11
                                        ; implicit-def: $vgpr15
	s_and_saveexec_b64 s[76:77], vcc
	s_cbranch_execz .LBB2_140
; %bb.133:                              ;   in Loop: Header=BB2_57 Depth=2
	buffer_load_dword v11, off, s[0:3], s33 offset:104 ; 4-byte Folded Reload
	v_lshlrev_b32_e32 v0, 6, v18
	v_sub_u32_e32 v15, v9, v14
	v_ashrrev_i32_e32 v17, 31, v15
	v_lshrrev_b32_e32 v17, 22, v17
	v_add_u32_e32 v17, v15, v17
	v_and_b32_e32 v19, 0xfffffc00, v17
	v_sub_u32_e32 v36, v15, v19
	v_ashrrev_i32_e32 v22, 10, v17
	v_cmp_lt_i32_e32 vcc, 15, v36
	s_waitcnt vmcnt(0)
	v_sub_u32_e32 v0, v11, v0
	v_ashrrev_i32_e32 v11, 31, v0
	v_lshrrev_b32_e32 v11, 26, v11
	v_add_u32_e32 v11, v0, v11
	v_ashrrev_i32_e32 v16, 6, v11
	v_and_b32_e32 v11, 0xffffffc0, v11
	v_sub_u32_e32 v18, v0, v11
	v_lshlrev_b32_e32 v0, 4, v18
	v_lshl_add_u32 v11, v16, 10, v0
	v_sub_u32_e32 v0, v15, v11
	v_addc_co_u32_e64 v15, s[26:27], 0, v22, vcc
	v_sub_u32_e32 v30, v15, v16
	v_cmp_lt_i32_e64 s[26:27], 15, v0
	s_and_saveexec_b64 s[78:79], s[26:27]
	s_cbranch_execz .LBB2_137
; %bb.134:                              ;   in Loop: Header=BB2_57 Depth=2
	v_add_u32_e32 v11, v11, v14
	v_ashrrev_i32_e32 v15, 31, v11
	s_mov_b64 s[88:89], 0
.LBB2_135:                              ;   Parent Loop BB2_47 Depth=1
                                        ;     Parent Loop BB2_57 Depth=2
                                        ; =>    This Inner Loop Header: Depth=3
	v_add_co_u32_e64 v16, s[26:27], v54, v11
	v_addc_co_u32_e64 v17, s[26:27], v55, v15, s[26:27]
	global_load_dwordx4 v[48:51], v[16:17], off glc slc
	v_add_co_u32_e64 v16, s[26:27], v40, v11
	v_addc_co_u32_e64 v17, s[26:27], v41, v15, s[26:27]
	v_add_co_u32_e64 v11, s[26:27], v11, v32
	v_sub_u32_e32 v0, v0, v32
	v_addc_co_u32_e64 v15, s[26:27], 0, v15, s[26:27]
	v_cmp_gt_i32_e64 s[26:27], 16, v0
	v_sub_u32_e32 v30, v30, v62
	s_or_b64 s[88:89], s[26:27], s[88:89]
	s_waitcnt vmcnt(0)
	global_store_dwordx4 v[16:17], v[48:51], off glc slc
	s_andn2_b64 exec, exec, s[88:89]
	s_cbranch_execnz .LBB2_135
; %bb.136:                              ;   in Loop: Header=BB2_57 Depth=2
	s_or_b64 exec, exec, s[88:89]
	buffer_load_dword v50, off, s[0:3], s33 offset:100 ; 4-byte Folded Reload
	v_mov_b32_e32 v51, 0xc8
.LBB2_137:                              ;   in Loop: Header=BB2_57 Depth=2
	s_or_b64 exec, exec, s[78:79]
	v_and_b32_e32 v37, 12, v9
	v_cndmask_b32_e32 v9, v36, v37, vcc
	v_mov_b32_e32 v0, 0
	s_mov_b64 s[88:89], 0
	v_cmp_ne_u32_e64 s[26:27], 0, v9
                                        ; implicit-def: $vgpr11
                                        ; implicit-def: $vgpr15
	s_mov_b64 s[78:79], exec
	buffer_load_dword v22, off, s[0:3], s33 offset:92 ; 4-byte Folded Reload
	buffer_load_dword v23, off, s[0:3], s33 offset:96 ; 4-byte Folded Reload
	s_and_b64 s[26:27], s[78:79], s[26:27]
	s_mov_b64 exec, s[26:27]
	s_cbranch_execz .LBB2_139
; %bb.138:                              ;   in Loop: Header=BB2_57 Depth=2
	v_sub_u32_e32 v0, v36, v37
	v_cndmask_b32_e32 v0, 0, v0, vcc
	v_cmp_lt_i32_e32 vcc, 0, v30
	v_cndmask_b32_e32 v11, 0, v62, vcc
	v_sub_u32_e32 v11, v11, v30
	v_lshl_add_u32 v11, v11, 6, v18
	v_add3_u32 v0, v19, v14, v0
	v_ashrrev_i32_e32 v14, 31, v11
	v_lshrrev_b32_e32 v14, 26, v14
	v_add_u32_e32 v14, v11, v14
	v_ashrrev_i32_e32 v15, 6, v14
	s_mov_b64 s[88:89], exec
.LBB2_139:                              ;   in Loop: Header=BB2_57 Depth=2
	s_or_b64 exec, exec, s[78:79]
	buffer_load_dword v34, off, s[0:3], s33 offset:72 ; 4-byte Folded Reload
	buffer_load_dword v35, off, s[0:3], s33 offset:76 ; 4-byte Folded Reload
	;; [unrolled: 1-line block ×4, first 2 shown]
	s_and_b64 s[78:79], s[88:89], exec
	v_mov_b32_e32 v30, 0x90
.LBB2_140:                              ;   in Loop: Header=BB2_57 Depth=2
	s_or_b64 exec, exec, s[76:77]
	s_and_saveexec_b64 s[26:27], s[78:79]
	s_cbranch_execz .LBB2_149
.LBB2_141:                              ;   in Loop: Header=BB2_57 Depth=2
	v_ashrrev_i32_e32 v14, 31, v9
	v_lshrrev_b32_e32 v14, 23, v14
	v_add_u32_e32 v14, v9, v14
	v_ashrrev_i32_e32 v19, 9, v14
	s_waitcnt vmcnt(0)
	v_sub_u32_e32 v14, v19, v15
	v_ashrrev_i32_e32 v16, 31, v11
	v_cmp_lt_i32_e32 vcc, 0, v14
	v_lshrrev_b32_e32 v18, 26, v16
	s_and_saveexec_b64 s[76:77], vcc
	s_cbranch_execz .LBB2_145
; %bb.142:                              ;   in Loop: Header=BB2_57 Depth=2
	v_add_u32_e32 v16, v11, v18
	v_and_b32_e32 v16, 0x3fffffc0, v16
	v_sub_u32_e32 v16, v11, v16
	v_lshlrev_b32_e32 v16, 2, v16
	v_lshlrev_b32_e32 v15, 9, v15
	v_add3_u32 v15, v16, v0, v15
	v_ashrrev_i32_e32 v30, 31, v15
	s_mov_b64 s[78:79], 0
.LBB2_143:                              ;   Parent Loop BB2_47 Depth=1
                                        ;     Parent Loop BB2_57 Depth=2
                                        ; =>    This Inner Loop Header: Depth=3
	v_add_co_u32_e32 v16, vcc, v54, v15
	v_addc_co_u32_e32 v17, vcc, v55, v30, vcc
	flat_load_dword v22, v[16:17] glc slc
	flat_load_dword v23, v[16:17] offset:256 glc slc
	v_add_co_u32_e32 v16, vcc, v40, v15
	v_addc_co_u32_e32 v17, vcc, v41, v30, vcc
	v_add_co_u32_e32 v15, vcc, v15, v33
	v_sub_u32_e32 v14, v14, v62
	v_addc_co_u32_e32 v30, vcc, 0, v30, vcc
	v_cmp_gt_i32_e32 vcc, 1, v14
	s_or_b64 s[78:79], vcc, s[78:79]
	s_waitcnt vmcnt(0) lgkmcnt(0)
	flat_store_dword v[16:17], v22 glc slc
	flat_store_dword v[16:17], v23 offset:256 glc slc
	s_andn2_b64 exec, exec, s[78:79]
	s_cbranch_execnz .LBB2_143
; %bb.144:                              ;   in Loop: Header=BB2_57 Depth=2
	s_or_b64 exec, exec, s[78:79]
	buffer_load_dword v22, off, s[0:3], s33 offset:92 ; 4-byte Folded Reload
	buffer_load_dword v23, off, s[0:3], s33 offset:96 ; 4-byte Folded Reload
	v_mov_b32_e32 v30, 0x90
.LBB2_145:                              ;   in Loop: Header=BB2_57 Depth=2
	s_or_b64 exec, exec, s[76:77]
	v_lshlrev_b32_e32 v15, 9, v19
	v_cmp_ne_u32_e32 vcc, v9, v15
	s_and_b64 exec, exec, vcc
	s_cbranch_execz .LBB2_149
; %bb.146:                              ;   in Loop: Header=BB2_57 Depth=2
	v_add_u32_e32 v16, v11, v18
	v_and_b32_e32 v16, 0xffffffc0, v16
	v_sub_u32_e32 v11, v11, v16
	v_lshlrev_b32_e32 v14, 6, v14
	v_sub_u32_e32 v11, v11, v14
	v_ashrrev_i32_e32 v14, 31, v11
	v_lshrrev_b32_e32 v14, 26, v14
	v_add_u32_e32 v14, v11, v14
	v_and_b32_e32 v16, 0x3fffffc0, v14
	v_sub_u32_e32 v11, v11, v16
	v_lshlrev_b32_e32 v14, 2, v14
	v_and_b32_e32 v14, 0xffffff00, v14
	v_lshlrev_b32_e32 v11, 2, v11
	v_add3_u32 v11, v14, v11, v15
	v_sub_u32_e32 v9, v9, v11
	v_cmp_lt_i32_e32 vcc, 3, v9
	s_and_b64 exec, exec, vcc
	s_cbranch_execz .LBB2_149
; %bb.147:                              ;   in Loop: Header=BB2_57 Depth=2
	v_add_u32_e32 v0, v11, v0
	v_ashrrev_i32_e32 v11, 31, v0
	s_mov_b64 s[76:77], 0
.LBB2_148:                              ;   Parent Loop BB2_47 Depth=1
                                        ;     Parent Loop BB2_57 Depth=2
                                        ; =>    This Inner Loop Header: Depth=3
	v_add_co_u32_e32 v14, vcc, v54, v0
	v_addc_co_u32_e32 v15, vcc, v55, v11, vcc
	flat_load_dword v16, v[14:15] glc slc
	v_add_co_u32_e32 v14, vcc, v40, v0
	v_addc_co_u32_e32 v15, vcc, v41, v11, vcc
	v_add_co_u32_e32 v0, vcc, v0, v4
	v_sub_u32_e32 v9, v9, v4
	v_addc_co_u32_e32 v11, vcc, 0, v11, vcc
	v_cmp_gt_i32_e32 vcc, 4, v9
	s_or_b64 s[76:77], vcc, s[76:77]
	s_waitcnt vmcnt(0) lgkmcnt(0)
	flat_store_dword v[14:15], v16 glc slc
	s_andn2_b64 exec, exec, s[76:77]
	s_cbranch_execnz .LBB2_148
.LBB2_149:                              ;   in Loop: Header=BB2_57 Depth=2
	s_or_b64 exec, exec, s[26:27]
	v_cmp_lt_i32_e64 s[26:27], 0, v3
	s_and_saveexec_b64 s[76:77], s[10:11]
	s_cbranch_execz .LBB2_168
.LBB2_150:                              ;   in Loop: Header=BB2_57 Depth=2
	s_and_saveexec_b64 s[78:79], s[56:57]
	s_xor_b64 s[78:79], exec, s[78:79]
	s_cbranch_execz .LBB2_165
; %bb.151:                              ;   in Loop: Header=BB2_57 Depth=2
	s_and_saveexec_b64 s[88:89], s[16:17]
	s_cbranch_execz .LBB2_164
; %bb.152:                              ;   in Loop: Header=BB2_57 Depth=2
	s_mov_b64 s[92:93], exec
	v_mbcnt_lo_u32_b32 v0, s92, 0
	v_mbcnt_hi_u32_b32 v0, s93, v0
	v_cmp_eq_u32_e32 vcc, 0, v0
	s_waitcnt vmcnt(0) lgkmcnt(0)
	buffer_wbinvl1_vol
	s_and_saveexec_b64 s[90:91], vcc
	s_cbranch_execz .LBB2_154
; %bb.153:                              ;   in Loop: Header=BB2_57 Depth=2
	s_bcnt1_i32_b64 s92, s[92:93]
	v_mov_b32_e32 v14, s92
	v_mov_b32_e32 v15, v2
	ds_add_u64 v0, v[14:15]
	s_trap 2
.LBB2_154:                              ;   in Loop: Header=BB2_57 Depth=2
	s_or_b64 exec, exec, s[90:91]
	s_trap 2
	ds_read_b64 v[14:15], v0
	s_waitcnt lgkmcnt(0)
	v_add_co_u32_e32 v12, vcc, v12, v62
	v_addc_co_u32_e32 v13, vcc, 0, v13, vcc
	v_cmp_lt_u64_e32 vcc, v[14:15], v[12:13]
	s_and_saveexec_b64 s[90:91], vcc
	s_cbranch_execz .LBB2_163
; %bb.155:                              ;   in Loop: Header=BB2_57 Depth=2
	s_mov_b32 s38, 0
	s_mov_b64 s[92:93], 0
                                        ; implicit-def: $sgpr94_sgpr95
                                        ; implicit-def: $sgpr30_sgpr31
	s_branch .LBB2_157
.LBB2_156:                              ;   in Loop: Header=BB2_157 Depth=3
	s_or_b64 exec, exec, s[36:37]
	s_and_b64 vcc, exec, vcc
	s_or_b64 s[92:93], vcc, s[92:93]
	s_andn2_b64 s[94:95], s[94:95], exec
	s_and_b64 vcc, s[30:31], exec
	s_or_b64 s[94:95], s[94:95], vcc
	s_andn2_b64 exec, exec, s[92:93]
	s_cbranch_execz .LBB2_161
.LBB2_157:                              ;   Parent Loop BB2_47 Depth=1
                                        ;     Parent Loop BB2_57 Depth=2
                                        ; =>    This Inner Loop Header: Depth=3
	s_add_i32 s38, s38, 1
	s_cmpk_lg_i32 s38, 0x2710
	s_cselect_b64 s[34:35], -1, 0
	s_and_b64 vcc, exec, s[34:35]
	s_cbranch_vccz .LBB2_159
; %bb.158:                              ;   in Loop: Header=BB2_157 Depth=3
	s_mov_b64 vcc, -1
	s_or_b64 s[30:31], s[30:31], exec
	s_and_saveexec_b64 s[36:37], s[34:35]
	s_cbranch_execz .LBB2_156
	s_branch .LBB2_160
.LBB2_159:                              ;   in Loop: Header=BB2_157 Depth=3
	s_trap 2
	ds_read_b64 v[14:15], v0
	s_andn2_b64 s[34:35], s[34:35], exec
	s_mov_b32 s38, 0
	s_waitcnt lgkmcnt(0)
	flat_load_dword v0, v[14:15] glc
	s_waitcnt vmcnt(0) lgkmcnt(0)
	buffer_wbinvl1_vol
	v_cmp_eq_u32_e32 vcc, 0, v0
	s_and_b64 vcc, vcc, exec
	s_or_b64 s[34:35], s[34:35], vcc
	s_mov_b64 vcc, -1
	s_or_b64 s[30:31], s[30:31], exec
	s_and_saveexec_b64 s[36:37], s[34:35]
	s_cbranch_execz .LBB2_156
.LBB2_160:                              ;   in Loop: Header=BB2_157 Depth=3
	s_sleep 1
	s_trap 2
	ds_read_b64 v[14:15], v0
	s_waitcnt lgkmcnt(0)
	s_andn2_b64 s[30:31], s[30:31], exec
	v_cmp_ge_u64_e32 vcc, v[14:15], v[12:13]
	s_orn2_b64 vcc, vcc, exec
	s_branch .LBB2_156
.LBB2_161:                              ;   in Loop: Header=BB2_57 Depth=2
	s_or_b64 exec, exec, s[92:93]
	s_and_saveexec_b64 s[92:93], s[94:95]
	s_xor_b64 s[92:93], exec, s[92:93]
	s_cbranch_execz .LBB2_163
; %bb.162:                              ;   in Loop: Header=BB2_57 Depth=2
	ds_write_b32 v0, v28
	s_trap 2
.LBB2_163:                              ;   in Loop: Header=BB2_57 Depth=2
	s_or_b64 exec, exec, s[90:91]
	;;#ASMSTART
	s_wakeup
	;;#ASMEND
.LBB2_164:                              ;   in Loop: Header=BB2_57 Depth=2
	s_or_b64 exec, exec, s[88:89]
.LBB2_165:                              ;   in Loop: Header=BB2_57 Depth=2
	s_andn2_saveexec_b64 s[78:79], s[78:79]
	s_cbranch_execz .LBB2_167
; %bb.166:                              ;   in Loop: Header=BB2_57 Depth=2
	s_waitcnt vmcnt(0) lgkmcnt(0)
	buffer_wbinvl1_vol
	s_barrier
.LBB2_167:                              ;   in Loop: Header=BB2_57 Depth=2
	s_or_b64 exec, exec, s[78:79]
.LBB2_168:                              ;   in Loop: Header=BB2_57 Depth=2
	s_or_b64 exec, exec, s[76:77]
	v_and_b32_e32 v0, 16, v60
	s_and_saveexec_b64 s[76:77], s[24:25]
	s_xor_b64 s[76:77], exec, s[76:77]
	s_cbranch_execz .LBB2_173
; %bb.169:                              ;   in Loop: Header=BB2_57 Depth=2
	v_and_b32_e32 v3, 16, v60
	v_cmp_ne_u32_e32 vcc, 0, v3
	v_and_b32_e32 v0, 16, v60
	s_and_b64 s[78:79], vcc, s[26:27]
	s_and_saveexec_b64 s[26:27], s[78:79]
	s_cbranch_execz .LBB2_171
; %bb.170:                              ;   in Loop: Header=BB2_57 Depth=2
	v_mov_b32_e32 v0, 1
	s_waitcnt vmcnt(0) lgkmcnt(0)
	buffer_wbinvl1_vol
.LBB2_171:                              ;   in Loop: Header=BB2_57 Depth=2
	s_or_b64 exec, exec, s[26:27]
	s_andn2_saveexec_b64 s[26:27], s[76:77]
	s_cbranch_execnz .LBB2_174
.LBB2_172:                              ;   in Loop: Header=BB2_57 Depth=2
	s_or_b64 exec, exec, s[26:27]
	v_cmp_ne_u32_e32 vcc, 0, v0
	s_and_saveexec_b64 s[26:27], vcc
	s_cbranch_execz .LBB2_56
	s_branch .LBB2_192
.LBB2_173:                              ;   in Loop: Header=BB2_57 Depth=2
	s_andn2_saveexec_b64 s[26:27], s[76:77]
	s_cbranch_execz .LBB2_172
.LBB2_174:                              ;   in Loop: Header=BB2_57 Depth=2
	s_and_saveexec_b64 s[76:77], s[56:57]
	s_xor_b64 s[76:77], exec, s[76:77]
	s_cbranch_execz .LBB2_189
; %bb.175:                              ;   in Loop: Header=BB2_57 Depth=2
	s_and_saveexec_b64 s[78:79], s[16:17]
	s_cbranch_execz .LBB2_188
; %bb.176:                              ;   in Loop: Header=BB2_57 Depth=2
	s_mov_b64 s[90:91], exec
	v_mbcnt_lo_u32_b32 v3, s90, 0
	v_mbcnt_hi_u32_b32 v3, s91, v3
	v_cmp_eq_u32_e32 vcc, 0, v3
	;;#ASMSTART
	s_waitcnt lgkmcnt(0) vmcnt(0)
	;;#ASMEND
	s_and_saveexec_b64 s[88:89], vcc
	s_cbranch_execz .LBB2_178
; %bb.177:                              ;   in Loop: Header=BB2_57 Depth=2
	s_bcnt1_i32_b64 s90, s[90:91]
	v_mov_b32_e32 v14, s90
	s_waitcnt vmcnt(0)
	v_mov_b32_e32 v15, v2
	s_waitcnt lgkmcnt(0)
	ds_add_u64 v0, v[14:15]
	s_trap 2
.LBB2_178:                              ;   in Loop: Header=BB2_57 Depth=2
	s_or_b64 exec, exec, s[88:89]
	s_trap 2
	s_waitcnt vmcnt(0)
	ds_read_b64 v[14:15], v0
	s_waitcnt lgkmcnt(0)
	v_add_co_u32_e32 v12, vcc, v12, v62
	v_addc_co_u32_e32 v13, vcc, 0, v13, vcc
	v_cmp_lt_u64_e32 vcc, v[14:15], v[12:13]
	s_and_saveexec_b64 s[88:89], vcc
	s_cbranch_execz .LBB2_187
; %bb.179:                              ;   in Loop: Header=BB2_57 Depth=2
	s_mov_b32 s36, 0
	s_mov_b64 s[90:91], 0
                                        ; implicit-def: $sgpr92_sgpr93
                                        ; implicit-def: $sgpr94_sgpr95
	s_branch .LBB2_181
.LBB2_180:                              ;   in Loop: Header=BB2_181 Depth=3
	s_or_b64 exec, exec, s[34:35]
	s_and_b64 vcc, exec, vcc
	s_or_b64 s[90:91], vcc, s[90:91]
	s_andn2_b64 s[92:93], s[92:93], exec
	s_and_b64 vcc, s[94:95], exec
	s_or_b64 s[92:93], s[92:93], vcc
	s_andn2_b64 exec, exec, s[90:91]
	s_cbranch_execz .LBB2_185
.LBB2_181:                              ;   Parent Loop BB2_47 Depth=1
                                        ;     Parent Loop BB2_57 Depth=2
                                        ; =>    This Inner Loop Header: Depth=3
	s_add_i32 s36, s36, 1
	s_cmpk_lg_i32 s36, 0x2710
	s_cselect_b64 s[30:31], -1, 0
	s_and_b64 vcc, exec, s[30:31]
	s_cbranch_vccz .LBB2_183
; %bb.182:                              ;   in Loop: Header=BB2_181 Depth=3
	s_mov_b64 vcc, -1
	s_or_b64 s[94:95], s[94:95], exec
	s_and_saveexec_b64 s[34:35], s[30:31]
	s_cbranch_execz .LBB2_180
	s_branch .LBB2_184
.LBB2_183:                              ;   in Loop: Header=BB2_181 Depth=3
	s_trap 2
	ds_read_b64 v[14:15], v0
	s_andn2_b64 s[30:31], s[30:31], exec
	s_mov_b32 s36, 0
	s_waitcnt lgkmcnt(0)
	flat_load_dword v3, v[14:15] glc
	s_waitcnt vmcnt(0) lgkmcnt(0)
	buffer_wbinvl1_vol
	v_cmp_eq_u32_e32 vcc, 0, v3
	s_and_b64 vcc, vcc, exec
	s_or_b64 s[30:31], s[30:31], vcc
	s_mov_b64 vcc, -1
	s_or_b64 s[94:95], s[94:95], exec
	s_and_saveexec_b64 s[34:35], s[30:31]
	s_cbranch_execz .LBB2_180
.LBB2_184:                              ;   in Loop: Header=BB2_181 Depth=3
	s_sleep 1
	s_trap 2
	ds_read_b64 v[14:15], v0
	s_waitcnt lgkmcnt(0)
	s_andn2_b64 s[94:95], s[94:95], exec
	v_cmp_ge_u64_e32 vcc, v[14:15], v[12:13]
	s_orn2_b64 vcc, vcc, exec
	s_branch .LBB2_180
.LBB2_185:                              ;   in Loop: Header=BB2_57 Depth=2
	s_or_b64 exec, exec, s[90:91]
	s_and_saveexec_b64 s[90:91], s[92:93]
	s_xor_b64 s[90:91], exec, s[90:91]
	s_cbranch_execz .LBB2_187
; %bb.186:                              ;   in Loop: Header=BB2_57 Depth=2
	ds_write_b32 v0, v28
	s_trap 2
.LBB2_187:                              ;   in Loop: Header=BB2_57 Depth=2
	s_or_b64 exec, exec, s[88:89]
	;;#ASMSTART
	s_wakeup
	;;#ASMEND
.LBB2_188:                              ;   in Loop: Header=BB2_57 Depth=2
	s_or_b64 exec, exec, s[78:79]
.LBB2_189:                              ;   in Loop: Header=BB2_57 Depth=2
	s_andn2_saveexec_b64 s[76:77], s[76:77]
	s_cbranch_execz .LBB2_191
; %bb.190:                              ;   in Loop: Header=BB2_57 Depth=2
	;;#ASMSTART
	s_waitcnt lgkmcnt(0) vmcnt(0)
	;;#ASMEND
	s_waitcnt vmcnt(0) lgkmcnt(0)
	s_barrier
.LBB2_191:                              ;   in Loop: Header=BB2_57 Depth=2
	s_or_b64 exec, exec, s[76:77]
	s_or_b64 exec, exec, s[26:27]
	v_cmp_ne_u32_e32 vcc, 0, v0
	s_and_saveexec_b64 s[26:27], vcc
	s_cbranch_execz .LBB2_56
.LBB2_192:                              ;   in Loop: Header=BB2_57 Depth=2
	s_and_saveexec_b64 s[76:77], s[14:15]
	s_cbranch_execz .LBB2_55
; %bb.193:                              ;   in Loop: Header=BB2_57 Depth=2
	flat_store_dword v[24:25], v28
	s_branch .LBB2_55
.LBB2_194:                              ;   in Loop: Header=BB2_47 Depth=1
	s_or_b64 exec, exec, s[40:41]
	v_ashrrev_i32_e32 v57, 31, v61
	v_mov_b32_e32 v56, 0xd0
.LBB2_195:                              ;   in Loop: Header=BB2_47 Depth=1
	s_or_b64 exec, exec, s[28:29]
	v_cmp_gt_i32_e32 vcc, 2, v0
	s_and_saveexec_b64 s[28:29], vcc
	s_cbranch_execz .LBB2_267
; %bb.196:                              ;   in Loop: Header=BB2_47 Depth=1
	v_cmp_eq_u32_e64 s[42:43], 0, v0
	s_mov_b64 s[40:41], 0
	s_branch .LBB2_199
.LBB2_197:                              ;   in Loop: Header=BB2_199 Depth=2
	s_or_b64 exec, exec, s[42:43]
	v_add_co_u32_e32 v38, vcc, 2, v38
	v_addc_co_u32_e32 v39, vcc, 0, v39, vcc
	flat_store_dwordx2 v[20:21], v[38:39]
.LBB2_198:                              ;   in Loop: Header=BB2_199 Depth=2
	s_or_b64 exec, exec, s[26:27]
	v_add_u32_e32 v10, v8, v10
	s_mov_b64 s[42:43], 0
	s_andn2_b64 exec, exec, s[40:41]
	s_cbranch_execz .LBB2_266
.LBB2_199:                              ;   Parent Loop BB2_47 Depth=1
                                        ; =>  This Loop Header: Depth=2
                                        ;       Child Loop BB2_205 Depth 3
                                        ;       Child Loop BB2_229 Depth 3
                                        ;       Child Loop BB2_253 Depth 3
	v_sub_u32_e32 v0, v44, v10
	v_min_i32_e32 v8, v8, v0
	v_and_b32_e32 v0, 8, v60
	v_cmp_ne_u32_e32 vcc, 0, v0
	s_and_saveexec_b64 s[76:77], vcc
	s_cbranch_execz .LBB2_221
; %bb.200:                              ;   in Loop: Header=BB2_199 Depth=2
	s_waitcnt vmcnt(0) lgkmcnt(0)
	v_add_co_u32_e32 v14, vcc, 8, v26
	v_addc_co_u32_e32 v15, vcc, 0, v27, vcc
	v_add_co_u32_e32 v52, vcc, 2, v38
	v_addc_co_u32_e32 v53, vcc, 0, v39, vcc
	v_cmp_lt_u64_e32 vcc, v[14:15], v[52:53]
	s_and_saveexec_b64 s[78:79], vcc
	s_cbranch_execz .LBB2_212
; %bb.201:                              ;   in Loop: Header=BB2_199 Depth=2
	v_and_b32_e32 v0, 64, v60
	s_mov_b32 s75, 0
	v_cmp_eq_u32_e32 vcc, 0, v0
	s_mov_b64 s[88:89], 0
                                        ; implicit-def: $sgpr90_sgpr91
                                        ; implicit-def: $sgpr92_sgpr93
                                        ; implicit-def: $sgpr94_sgpr95
	s_branch .LBB2_205
.LBB2_202:                              ;   in Loop: Header=BB2_205 Depth=3
	s_waitcnt vmcnt(0) lgkmcnt(0)
	v_add_co_u32_e64 v14, s[26:27], 8, v26
	v_addc_co_u32_e64 v15, s[26:27], 0, v27, s[26:27]
	v_cmp_ge_u64_e64 s[26:27], v[14:15], v[52:53]
	s_or_b64 s[36:37], s[36:37], exec
	s_orn2_b64 s[34:35], s[26:27], exec
.LBB2_203:                              ;   in Loop: Header=BB2_205 Depth=3
	s_or_b64 exec, exec, s[48:49]
	s_andn2_b64 s[26:27], s[94:95], exec
	s_and_b64 s[94:95], s[36:37], exec
	s_or_b64 s[94:95], s[26:27], s[94:95]
	s_andn2_b64 s[26:27], s[92:93], exec
	s_and_b64 s[92:93], s[34:35], exec
	s_or_b64 s[92:93], s[26:27], s[92:93]
.LBB2_204:                              ;   in Loop: Header=BB2_205 Depth=3
	s_or_b64 exec, exec, s[30:31]
	s_and_b64 s[26:27], exec, s[92:93]
	s_or_b64 s[88:89], s[26:27], s[88:89]
	s_andn2_b64 s[26:27], s[90:91], exec
	s_and_b64 s[90:91], s[94:95], exec
	s_or_b64 s[90:91], s[26:27], s[90:91]
	s_andn2_b64 exec, exec, s[88:89]
	s_cbranch_execz .LBB2_209
.LBB2_205:                              ;   Parent Loop BB2_47 Depth=1
                                        ;     Parent Loop BB2_199 Depth=2
                                        ; =>    This Inner Loop Header: Depth=3
	s_sleep 1
	s_waitcnt vmcnt(0) lgkmcnt(0)
	flat_load_dwordx2 v[26:27], v[20:21] glc
	s_or_b64 s[94:95], s[94:95], exec
	s_or_b64 s[92:93], s[92:93], exec
                                        ; implicit-def: $vgpr0
	s_and_saveexec_b64 s[30:31], vcc
	s_cbranch_execz .LBB2_204
; %bb.206:                              ;   in Loop: Header=BB2_205 Depth=3
	s_cmpk_lt_i32 s75, 0x270f
	s_cselect_b64 s[38:39], -1, 0
	s_cmpk_gt_i32 s75, 0x270e
	s_mov_b64 s[34:35], -1
	s_cbranch_scc0 .LBB2_208
; %bb.207:                              ;   in Loop: Header=BB2_205 Depth=3
	s_trap 2
	ds_read_b64 v[14:15], v0
	s_andn2_b64 s[38:39], s[38:39], exec
	s_mov_b32 s75, 0
	s_mov_b64 s[36:37], 0
	s_waitcnt vmcnt(0) lgkmcnt(0)
	flat_load_dword v0, v[14:15] glc
	s_waitcnt vmcnt(0) lgkmcnt(0)
	buffer_wbinvl1_vol
	v_cmp_eq_u32_e64 s[26:27], 0, v0
	s_and_b64 s[26:27], s[26:27], exec
	s_or_b64 s[38:39], s[38:39], s[26:27]
	s_and_saveexec_b64 s[48:49], s[38:39]
	s_cbranch_execz .LBB2_203
	s_branch .LBB2_202
.LBB2_208:                              ;   in Loop: Header=BB2_205 Depth=3
	s_add_i32 s75, s75, 1
	s_mov_b64 s[36:37], -1
                                        ; implicit-def: $vgpr0
	s_and_saveexec_b64 s[48:49], s[38:39]
	s_cbranch_execz .LBB2_203
	s_branch .LBB2_202
.LBB2_209:                              ;   in Loop: Header=BB2_199 Depth=2
	s_or_b64 exec, exec, s[88:89]
	s_xor_b64 s[26:27], s[90:91], -1
	s_and_saveexec_b64 s[88:89], s[26:27]
	s_xor_b64 s[26:27], exec, s[88:89]
	s_cbranch_execz .LBB2_211
; %bb.210:                              ;   in Loop: Header=BB2_199 Depth=2
	v_or_b32_e32 v60, 64, v60
	s_waitcnt lgkmcnt(0)
	ds_write_b32 v0, v0
	s_trap 2
.LBB2_211:                              ;   in Loop: Header=BB2_199 Depth=2
	s_or_b64 exec, exec, s[26:27]
.LBB2_212:                              ;   in Loop: Header=BB2_199 Depth=2
	s_or_b64 exec, exec, s[78:79]
	v_and_b32_e32 v0, 0x100, v60
	v_cmp_ne_u32_e32 vcc, 0, v0
	v_and_b32_e32 v0, 7, v38
	s_mov_b64 s[26:27], -1
	;;#ASMSTART
	s_wakeup
	;;#ASMEND
                                        ; implicit-def: $vgpr38_vgpr39
	s_and_saveexec_b64 s[78:79], vcc
	s_cbranch_execz .LBB2_216
; %bb.213:                              ;   in Loop: Header=BB2_199 Depth=2
	v_mad_u64_u32 v[54:55], s[26:27], v0, 24, v[34:35]
	v_ashrrev_i32_e32 v9, 31, v8
	v_lshlrev_b64 v[14:15], 2, v[8:9]
	flat_load_dword v3, v[54:55]
                                        ; implicit-def: $vgpr38_vgpr39
	s_waitcnt vmcnt(0) lgkmcnt(0)
	v_cmp_ne_u32_e32 vcc, 1, v3
	v_cmp_eq_u32_e64 s[26:27], 1, v3
	flat_store_dwordx2 v[54:55], v[14:15] offset:8
	s_and_saveexec_b64 s[88:89], s[26:27]
	s_cbranch_execz .LBB2_215
; %bb.214:                              ;   in Loop: Header=BB2_199 Depth=2
	flat_load_dword v14, v[54:55] offset:4 glc
	s_waitcnt vmcnt(0) lgkmcnt(0)
	v_ashrrev_i32_e32 v15, 31, v14
	v_lshrrev_b64 v[38:39], 2, v[14:15]
.LBB2_215:                              ;   in Loop: Header=BB2_199 Depth=2
	s_or_b64 exec, exec, s[88:89]
	s_orn2_b64 s[26:27], vcc, exec
.LBB2_216:                              ;   in Loop: Header=BB2_199 Depth=2
	s_or_b64 exec, exec, s[78:79]
	s_and_saveexec_b64 s[78:79], s[26:27]
; %bb.217:                              ;   in Loop: Header=BB2_199 Depth=2
	v_mad_i64_i32 v[38:39], s[26:27], v0, v61, 0
; %bb.218:                              ;   in Loop: Header=BB2_199 Depth=2
	s_or_b64 exec, exec, s[78:79]
	v_lshlrev_b64 v[14:15], 2, v[38:39]
	v_add_co_u32_e32 v14, vcc, v6, v14
	v_addc_co_u32_e32 v15, vcc, v7, v15, vcc
	ds_write_b64 v0, v[14:15] offset:784
	v_and_b32_e32 v0, 0x2000, v60
	v_cmp_ne_u32_e32 vcc, 0, v0
	s_and_saveexec_b64 s[26:27], vcc
	s_cbranch_execz .LBB2_220
; %bb.219:                              ;   in Loop: Header=BB2_199 Depth=2
	ds_read_b64 v[14:15], v0 offset:872
	s_waitcnt lgkmcnt(0)
	v_add_co_u32_e32 v14, vcc, 1, v14
	v_addc_co_u32_e32 v15, vcc, 0, v15, vcc
	ds_write_b64 v0, v[14:15] offset:872
.LBB2_220:                              ;   in Loop: Header=BB2_199 Depth=2
	s_or_b64 exec, exec, s[26:27]
	v_mov_b32_e32 v38, v52
	v_mov_b32_e32 v39, v53
.LBB2_221:                              ;   in Loop: Header=BB2_199 Depth=2
	s_or_b64 exec, exec, s[76:77]
	s_xor_b64 s[26:27], s[42:43], -1
	s_and_b64 s[26:27], exec, s[26:27]
	s_or_b64 s[40:41], s[26:27], s[40:41]
	s_and_saveexec_b64 s[26:27], s[10:11]
	s_cbranch_execz .LBB2_240
; %bb.222:                              ;   in Loop: Header=BB2_199 Depth=2
	s_and_saveexec_b64 s[42:43], s[56:57]
	s_xor_b64 s[42:43], exec, s[42:43]
	s_cbranch_execz .LBB2_237
; %bb.223:                              ;   in Loop: Header=BB2_199 Depth=2
	s_and_saveexec_b64 s[76:77], s[16:17]
	s_cbranch_execz .LBB2_236
; %bb.224:                              ;   in Loop: Header=BB2_199 Depth=2
	s_mov_b64 s[88:89], exec
	v_mbcnt_lo_u32_b32 v0, s88, 0
	v_mbcnt_hi_u32_b32 v0, s89, v0
	v_cmp_eq_u32_e32 vcc, 0, v0
	s_waitcnt vmcnt(0) lgkmcnt(0)
	buffer_wbinvl1_vol
	s_and_saveexec_b64 s[78:79], vcc
	s_cbranch_execz .LBB2_226
; %bb.225:                              ;   in Loop: Header=BB2_199 Depth=2
	s_bcnt1_i32_b64 s75, s[88:89]
	v_mov_b32_e32 v14, s75
	v_mov_b32_e32 v15, v2
	ds_add_u64 v0, v[14:15]
	s_trap 2
.LBB2_226:                              ;   in Loop: Header=BB2_199 Depth=2
	s_or_b64 exec, exec, s[78:79]
	s_trap 2
	ds_read_b64 v[14:15], v0
	s_waitcnt lgkmcnt(0)
	v_add_co_u32_e32 v12, vcc, v12, v62
	v_addc_co_u32_e32 v13, vcc, 0, v13, vcc
	v_cmp_lt_u64_e32 vcc, v[14:15], v[12:13]
	s_and_saveexec_b64 s[78:79], vcc
	s_cbranch_execz .LBB2_235
; %bb.227:                              ;   in Loop: Header=BB2_199 Depth=2
	s_mov_b32 s75, 0
	s_mov_b64 s[88:89], 0
                                        ; implicit-def: $sgpr90_sgpr91
                                        ; implicit-def: $sgpr92_sgpr93
	s_branch .LBB2_229
.LBB2_228:                              ;   in Loop: Header=BB2_229 Depth=3
	s_or_b64 exec, exec, s[30:31]
	s_and_b64 s[94:95], exec, vcc
	s_or_b64 s[88:89], s[94:95], s[88:89]
	s_andn2_b64 s[90:91], s[90:91], exec
	s_and_b64 s[94:95], s[92:93], exec
	s_or_b64 s[90:91], s[90:91], s[94:95]
	s_andn2_b64 exec, exec, s[88:89]
	s_cbranch_execz .LBB2_233
.LBB2_229:                              ;   Parent Loop BB2_47 Depth=1
                                        ;     Parent Loop BB2_199 Depth=2
                                        ; =>    This Inner Loop Header: Depth=3
	s_add_i32 s75, s75, 1
	s_cmpk_lg_i32 s75, 0x2710
	s_cselect_b64 s[94:95], -1, 0
	s_and_b64 vcc, exec, s[94:95]
	s_cbranch_vccz .LBB2_231
; %bb.230:                              ;   in Loop: Header=BB2_229 Depth=3
	s_mov_b64 vcc, -1
	s_or_b64 s[92:93], s[92:93], exec
	s_and_saveexec_b64 s[30:31], s[94:95]
	s_cbranch_execz .LBB2_228
	s_branch .LBB2_232
.LBB2_231:                              ;   in Loop: Header=BB2_229 Depth=3
	s_trap 2
	ds_read_b64 v[14:15], v0
	s_andn2_b64 s[94:95], s[94:95], exec
	s_mov_b32 s75, 0
	s_waitcnt lgkmcnt(0)
	flat_load_dword v0, v[14:15] glc
	s_waitcnt vmcnt(0) lgkmcnt(0)
	buffer_wbinvl1_vol
	v_cmp_eq_u32_e32 vcc, 0, v0
	s_and_b64 vcc, vcc, exec
	s_or_b64 s[94:95], s[94:95], vcc
	s_mov_b64 vcc, -1
	s_or_b64 s[92:93], s[92:93], exec
	s_and_saveexec_b64 s[30:31], s[94:95]
	s_cbranch_execz .LBB2_228
.LBB2_232:                              ;   in Loop: Header=BB2_229 Depth=3
	s_sleep 1
	s_trap 2
	ds_read_b64 v[14:15], v0
	s_waitcnt lgkmcnt(0)
	s_andn2_b64 s[92:93], s[92:93], exec
	v_cmp_ge_u64_e32 vcc, v[14:15], v[12:13]
	s_orn2_b64 vcc, vcc, exec
	s_branch .LBB2_228
.LBB2_233:                              ;   in Loop: Header=BB2_199 Depth=2
	s_or_b64 exec, exec, s[88:89]
	s_and_saveexec_b64 s[88:89], s[90:91]
	s_xor_b64 s[88:89], exec, s[88:89]
	s_cbranch_execz .LBB2_235
; %bb.234:                              ;   in Loop: Header=BB2_199 Depth=2
	ds_write_b32 v0, v28
	s_trap 2
.LBB2_235:                              ;   in Loop: Header=BB2_199 Depth=2
	s_or_b64 exec, exec, s[78:79]
	;;#ASMSTART
	s_wakeup
	;;#ASMEND
.LBB2_236:                              ;   in Loop: Header=BB2_199 Depth=2
	s_or_b64 exec, exec, s[76:77]
.LBB2_237:                              ;   in Loop: Header=BB2_199 Depth=2
	s_andn2_saveexec_b64 s[42:43], s[42:43]
	s_cbranch_execz .LBB2_239
; %bb.238:                              ;   in Loop: Header=BB2_199 Depth=2
	s_waitcnt vmcnt(0) lgkmcnt(0)
	buffer_wbinvl1_vol
	s_barrier
.LBB2_239:                              ;   in Loop: Header=BB2_199 Depth=2
	s_or_b64 exec, exec, s[42:43]
.LBB2_240:                              ;   in Loop: Header=BB2_199 Depth=2
	s_or_b64 exec, exec, s[26:27]
	v_and_b32_e32 v0, 16, v60
	s_and_saveexec_b64 s[26:27], s[24:25]
	s_xor_b64 s[26:27], exec, s[26:27]
	s_cbranch_execz .LBB2_245
; %bb.241:                              ;   in Loop: Header=BB2_199 Depth=2
	s_trap 2
	ds_read_b32 v0, v0
	v_cmp_lt_i32_e32 vcc, 0, v8
	v_and_b32_e32 v3, 16, v60
	s_waitcnt lgkmcnt(0)
	v_readfirstlane_b32 s42, v0
	s_cmp_eq_u32 s42, 0
	s_cselect_b64 s[42:43], -1, 0
	s_and_b64 s[42:43], vcc, s[42:43]
	v_cmp_ne_u32_e32 vcc, 0, v3
	v_and_b32_e32 v0, 16, v60
	s_and_b64 s[76:77], vcc, s[42:43]
	s_and_saveexec_b64 s[42:43], s[76:77]
	s_cbranch_execz .LBB2_243
; %bb.242:                              ;   in Loop: Header=BB2_199 Depth=2
	v_mov_b32_e32 v0, 1
	s_waitcnt vmcnt(0)
	buffer_wbinvl1_vol
.LBB2_243:                              ;   in Loop: Header=BB2_199 Depth=2
	s_or_b64 exec, exec, s[42:43]
	s_andn2_saveexec_b64 s[26:27], s[26:27]
	s_cbranch_execnz .LBB2_246
.LBB2_244:                              ;   in Loop: Header=BB2_199 Depth=2
	s_or_b64 exec, exec, s[26:27]
	v_cmp_ne_u32_e32 vcc, 0, v0
	s_and_saveexec_b64 s[26:27], vcc
	s_cbranch_execz .LBB2_198
	s_branch .LBB2_264
.LBB2_245:                              ;   in Loop: Header=BB2_199 Depth=2
	s_andn2_saveexec_b64 s[26:27], s[26:27]
	s_cbranch_execz .LBB2_244
.LBB2_246:                              ;   in Loop: Header=BB2_199 Depth=2
	s_and_saveexec_b64 s[42:43], s[56:57]
	s_xor_b64 s[42:43], exec, s[42:43]
	s_cbranch_execz .LBB2_261
; %bb.247:                              ;   in Loop: Header=BB2_199 Depth=2
	s_and_saveexec_b64 s[76:77], s[16:17]
	s_cbranch_execz .LBB2_260
; %bb.248:                              ;   in Loop: Header=BB2_199 Depth=2
	s_mov_b64 s[88:89], exec
	v_mbcnt_lo_u32_b32 v3, s88, 0
	v_mbcnt_hi_u32_b32 v3, s89, v3
	v_cmp_eq_u32_e32 vcc, 0, v3
	;;#ASMSTART
	s_waitcnt lgkmcnt(0) vmcnt(0)
	;;#ASMEND
	s_and_saveexec_b64 s[78:79], vcc
	s_cbranch_execz .LBB2_250
; %bb.249:                              ;   in Loop: Header=BB2_199 Depth=2
	s_bcnt1_i32_b64 s75, s[88:89]
	v_mov_b32_e32 v14, s75
	s_waitcnt vmcnt(0)
	v_mov_b32_e32 v15, v2
	s_waitcnt lgkmcnt(0)
	ds_add_u64 v0, v[14:15]
	s_trap 2
.LBB2_250:                              ;   in Loop: Header=BB2_199 Depth=2
	s_or_b64 exec, exec, s[78:79]
	s_trap 2
	s_waitcnt vmcnt(0)
	ds_read_b64 v[14:15], v0
	s_waitcnt lgkmcnt(0)
	v_add_co_u32_e32 v12, vcc, v12, v62
	v_addc_co_u32_e32 v13, vcc, 0, v13, vcc
	v_cmp_lt_u64_e32 vcc, v[14:15], v[12:13]
	s_and_saveexec_b64 s[78:79], vcc
	s_cbranch_execz .LBB2_259
; %bb.251:                              ;   in Loop: Header=BB2_199 Depth=2
	s_mov_b32 s75, 0
	s_mov_b64 s[88:89], 0
                                        ; implicit-def: $sgpr90_sgpr91
                                        ; implicit-def: $sgpr92_sgpr93
	s_branch .LBB2_253
.LBB2_252:                              ;   in Loop: Header=BB2_253 Depth=3
	s_or_b64 exec, exec, s[30:31]
	s_and_b64 s[94:95], exec, vcc
	s_or_b64 s[88:89], s[94:95], s[88:89]
	s_andn2_b64 s[90:91], s[90:91], exec
	s_and_b64 s[94:95], s[92:93], exec
	s_or_b64 s[90:91], s[90:91], s[94:95]
	s_andn2_b64 exec, exec, s[88:89]
	s_cbranch_execz .LBB2_257
.LBB2_253:                              ;   Parent Loop BB2_47 Depth=1
                                        ;     Parent Loop BB2_199 Depth=2
                                        ; =>    This Inner Loop Header: Depth=3
	s_add_i32 s75, s75, 1
	s_cmpk_lg_i32 s75, 0x2710
	s_cselect_b64 s[94:95], -1, 0
	s_and_b64 vcc, exec, s[94:95]
	s_cbranch_vccz .LBB2_255
; %bb.254:                              ;   in Loop: Header=BB2_253 Depth=3
	s_mov_b64 vcc, -1
	s_or_b64 s[92:93], s[92:93], exec
	s_and_saveexec_b64 s[30:31], s[94:95]
	s_cbranch_execz .LBB2_252
	s_branch .LBB2_256
.LBB2_255:                              ;   in Loop: Header=BB2_253 Depth=3
	s_trap 2
	ds_read_b64 v[14:15], v0
	s_andn2_b64 s[94:95], s[94:95], exec
	s_mov_b32 s75, 0
	s_waitcnt lgkmcnt(0)
	flat_load_dword v3, v[14:15] glc
	s_waitcnt vmcnt(0) lgkmcnt(0)
	buffer_wbinvl1_vol
	v_cmp_eq_u32_e32 vcc, 0, v3
	s_and_b64 vcc, vcc, exec
	s_or_b64 s[94:95], s[94:95], vcc
	s_mov_b64 vcc, -1
	s_or_b64 s[92:93], s[92:93], exec
	s_and_saveexec_b64 s[30:31], s[94:95]
	s_cbranch_execz .LBB2_252
.LBB2_256:                              ;   in Loop: Header=BB2_253 Depth=3
	s_sleep 1
	s_trap 2
	ds_read_b64 v[14:15], v0
	s_waitcnt lgkmcnt(0)
	s_andn2_b64 s[92:93], s[92:93], exec
	v_cmp_ge_u64_e32 vcc, v[14:15], v[12:13]
	s_orn2_b64 vcc, vcc, exec
	s_branch .LBB2_252
.LBB2_257:                              ;   in Loop: Header=BB2_199 Depth=2
	s_or_b64 exec, exec, s[88:89]
	s_and_saveexec_b64 s[88:89], s[90:91]
	s_xor_b64 s[88:89], exec, s[88:89]
	s_cbranch_execz .LBB2_259
; %bb.258:                              ;   in Loop: Header=BB2_199 Depth=2
	ds_write_b32 v0, v28
	s_trap 2
.LBB2_259:                              ;   in Loop: Header=BB2_199 Depth=2
	s_or_b64 exec, exec, s[78:79]
	;;#ASMSTART
	s_wakeup
	;;#ASMEND
.LBB2_260:                              ;   in Loop: Header=BB2_199 Depth=2
	s_or_b64 exec, exec, s[76:77]
.LBB2_261:                              ;   in Loop: Header=BB2_199 Depth=2
	s_andn2_saveexec_b64 s[42:43], s[42:43]
	s_cbranch_execz .LBB2_263
; %bb.262:                              ;   in Loop: Header=BB2_199 Depth=2
	;;#ASMSTART
	s_waitcnt lgkmcnt(0) vmcnt(0)
	;;#ASMEND
	s_waitcnt vmcnt(0) lgkmcnt(0)
	s_barrier
.LBB2_263:                              ;   in Loop: Header=BB2_199 Depth=2
	s_or_b64 exec, exec, s[42:43]
	s_or_b64 exec, exec, s[26:27]
	v_cmp_ne_u32_e32 vcc, 0, v0
	s_and_saveexec_b64 s[26:27], vcc
	s_cbranch_execz .LBB2_198
.LBB2_264:                              ;   in Loop: Header=BB2_199 Depth=2
	s_and_saveexec_b64 s[42:43], s[14:15]
	s_cbranch_execz .LBB2_197
; %bb.265:                              ;   in Loop: Header=BB2_199 Depth=2
	flat_store_dword v[24:25], v28
	s_branch .LBB2_197
.LBB2_266:                              ;   in Loop: Header=BB2_47 Depth=1
	s_or_b64 exec, exec, s[40:41]
.LBB2_267:                              ;   in Loop: Header=BB2_47 Depth=1
	s_or_b64 exec, exec, s[28:29]
	v_cndmask_b32_e64 v0, 0, 1, s[60:61]
	v_cmp_ne_u32_e64 s[26:27], 1, v0
	s_andn2_b64 vcc, exec, s[60:61]
	s_cbranch_vccnz .LBB2_492
; %bb.268:                              ;   in Loop: Header=BB2_47 Depth=1
	s_mov_b32 s75, 2
	s_branch .LBB2_271
.LBB2_269:                              ;   in Loop: Header=BB2_271 Depth=2
	s_or_b64 exec, exec, s[42:43]
.LBB2_270:                              ;   in Loop: Header=BB2_271 Depth=2
	s_or_b64 exec, exec, s[40:41]
	s_add_i32 s75, s75, 1
	s_cmp_eq_u32 s75, s52
	v_mov_b32_e32 v56, 0xd0
	s_cbranch_scc1 .LBB2_492
.LBB2_271:                              ;   Parent Loop BB2_47 Depth=1
                                        ; =>  This Loop Header: Depth=2
                                        ;       Child Loop BB2_274 Depth 3
                                        ;         Child Loop BB2_282 Depth 4
                                        ;         Child Loop BB2_310 Depth 4
	;; [unrolled: 1-line block ×9, first 2 shown]
                                        ;       Child Loop BB2_420 Depth 3
                                        ;         Child Loop BB2_426 Depth 4
                                        ;         Child Loop BB2_454 Depth 4
	;; [unrolled: 1-line block ×3, first 2 shown]
	buffer_load_dword v10, off, s[0:3], s33 offset:116 ; 4-byte Folded Reload
	buffer_load_dword v11, off, s[0:3], s33 offset:120 ; 4-byte Folded Reload
	;; [unrolled: 1-line block ×4, first 2 shown]
	s_sub_i32 s28, s65, s75
	s_cmp_ge_i32 s28, s52
	s_cselect_b32 s29, s52, 0
	s_sub_i32 s28, s28, s29
	s_ashr_i32 s40, s28, 31
	s_waitcnt vmcnt(0)
	v_mul_lo_u32 v3, v10, s40
	v_mul_lo_u32 v0, v11, s28
	v_mad_u64_u32 v[52:53], s[28:29], v10, s28, 0
	v_add3_u32 v53, v53, v3, v0
	v_sub_co_u32_e32 v8, vcc, v8, v52
	v_subb_co_u32_e32 v9, vcc, v9, v53, vcc
	v_cmp_lt_i64_e32 vcc, v[10:11], v[8:9]
	v_cndmask_b32_e32 v0, v8, v10, vcc
	v_max_i32_e32 v56, 0, v0
	v_add_u32_e32 v3, 31, v56
	v_lshrrev_b32_e32 v3, 1, v3
	v_and_b32_e32 v3, 0x3ffffff0, v3
	v_cmp_lt_i32_e32 vcc, 0, v0
	v_max_i32_e32 v8, s68, v3
	s_and_b64 s[28:29], s[72:73], vcc
	v_mov_b32_e32 v0, 0
	v_mov_b32_e32 v10, 0
	s_and_saveexec_b64 s[40:41], s[28:29]
	s_cbranch_execz .LBB2_417
; %bb.272:                              ;   in Loop: Header=BB2_271 Depth=2
	v_lshlrev_b64 v[52:53], 2, v[52:53]
	s_mov_b32 s80, 1
	s_mov_b64 s[76:77], -1
	v_mov_b32_e32 v10, 0
	s_mov_b64 s[42:43], 0
	s_branch .LBB2_274
.LBB2_273:                              ;   in Loop: Header=BB2_274 Depth=3
	s_or_b64 exec, exec, s[28:29]
	v_add_u32_e32 v10, v8, v10
	v_cmp_ge_i32_e32 vcc, v10, v56
	s_xor_b64 s[28:29], s[76:77], -1
	s_or_b64 s[28:29], s[28:29], vcc
	s_and_b64 s[28:29], exec, s[28:29]
	s_or_b64 s[42:43], s[28:29], s[42:43]
	s_mov_b64 s[76:77], 0
	v_mov_b32_e32 v0, s80
	s_mov_b32 s80, 2
	s_andn2_b64 exec, exec, s[42:43]
	s_cbranch_execz .LBB2_416
.LBB2_274:                              ;   Parent Loop BB2_47 Depth=1
                                        ;     Parent Loop BB2_271 Depth=2
                                        ; =>    This Loop Header: Depth=3
                                        ;         Child Loop BB2_282 Depth 4
                                        ;         Child Loop BB2_310 Depth 4
	;; [unrolled: 1-line block ×9, first 2 shown]
	s_and_saveexec_b64 s[28:29], s[4:5]
	s_cbranch_execz .LBB2_276
; %bb.275:                              ;   in Loop: Header=BB2_274 Depth=3
	s_trap 2
	ds_read_b64 v[14:15], v0
	s_waitcnt vmcnt(0)
	v_lshlrev_b64 v[16:17], 2, v[22:23]
	v_ashrrev_i32_e32 v11, 31, v10
	s_waitcnt lgkmcnt(0)
	v_add_co_u32_e32 v0, vcc, v14, v16
	v_addc_co_u32_e32 v3, vcc, v15, v17, vcc
	v_add_co_u32_e32 v0, vcc, v0, v52
	v_lshlrev_b64 v[14:15], 2, v[10:11]
	v_addc_co_u32_e32 v3, vcc, v3, v53, vcc
	v_add_co_u32_e32 v14, vcc, v0, v14
	v_addc_co_u32_e32 v15, vcc, v3, v15, vcc
	v_mov_b32_e32 v3, v2
	ds_write_b64 v0, v[14:15]
	ds_write_b64 v0, v[2:3]
.LBB2_276:                              ;   in Loop: Header=BB2_274 Depth=3
	s_or_b64 exec, exec, s[28:29]
	v_sub_u32_e32 v0, v56, v10
	v_min_i32_e32 v8, v8, v0
	v_and_b32_e32 v0, 12, v60
	v_cmp_ne_u32_e32 vcc, 0, v0
	s_and_saveexec_b64 s[78:79], vcc
	s_cbranch_execz .LBB2_302
; %bb.277:                              ;   in Loop: Header=BB2_274 Depth=3
	v_and_b32_e32 v3, 8, v60
	s_waitcnt vmcnt(0) lgkmcnt(0)
	v_add_co_u32_e32 v14, vcc, v26, v3
	v_addc_co_u32_e32 v15, vcc, 0, v27, vcc
	v_add_co_u32_e32 v54, vcc, 2, v38
	v_addc_co_u32_e32 v55, vcc, 0, v39, vcc
	v_cmp_lt_u64_e32 vcc, v[14:15], v[54:55]
	s_and_saveexec_b64 s[88:89], vcc
	s_cbranch_execz .LBB2_289
; %bb.278:                              ;   in Loop: Header=BB2_274 Depth=3
	v_and_b32_e32 v0, 64, v60
	s_mov_b32 s81, 0
	v_cmp_eq_u32_e32 vcc, 0, v0
	s_mov_b64 s[90:91], 0
                                        ; implicit-def: $sgpr92_sgpr93
                                        ; implicit-def: $sgpr94_sgpr95
                                        ; implicit-def: $sgpr30_sgpr31
	s_branch .LBB2_282
.LBB2_279:                              ;   in Loop: Header=BB2_282 Depth=4
	s_waitcnt vmcnt(0) lgkmcnt(0)
	v_add_co_u32_e64 v14, s[28:29], v26, v3
	v_addc_co_u32_e64 v15, s[28:29], 0, v27, s[28:29]
	v_cmp_ge_u64_e64 s[28:29], v[14:15], v[54:55]
	s_or_b64 s[38:39], s[38:39], exec
	s_orn2_b64 s[36:37], s[28:29], exec
.LBB2_280:                              ;   in Loop: Header=BB2_282 Depth=4
	s_or_b64 exec, exec, s[50:51]
	s_andn2_b64 s[28:29], s[30:31], exec
	s_and_b64 s[30:31], s[38:39], exec
	s_or_b64 s[30:31], s[28:29], s[30:31]
	s_andn2_b64 s[28:29], s[94:95], exec
	s_and_b64 s[94:95], s[36:37], exec
	s_or_b64 s[94:95], s[28:29], s[94:95]
.LBB2_281:                              ;   in Loop: Header=BB2_282 Depth=4
	s_or_b64 exec, exec, s[34:35]
	s_and_b64 s[28:29], exec, s[94:95]
	s_or_b64 s[90:91], s[28:29], s[90:91]
	s_andn2_b64 s[28:29], s[92:93], exec
	s_and_b64 s[92:93], s[30:31], exec
	s_or_b64 s[92:93], s[28:29], s[92:93]
	s_andn2_b64 exec, exec, s[90:91]
	s_cbranch_execz .LBB2_286
.LBB2_282:                              ;   Parent Loop BB2_47 Depth=1
                                        ;     Parent Loop BB2_271 Depth=2
                                        ;       Parent Loop BB2_274 Depth=3
                                        ; =>      This Inner Loop Header: Depth=4
	s_sleep 1
	s_waitcnt vmcnt(0) lgkmcnt(0)
	flat_load_dwordx2 v[26:27], v[20:21] glc
	s_or_b64 s[30:31], s[30:31], exec
	s_or_b64 s[94:95], s[94:95], exec
                                        ; implicit-def: $vgpr0
	s_and_saveexec_b64 s[34:35], vcc
	s_cbranch_execz .LBB2_281
; %bb.283:                              ;   in Loop: Header=BB2_282 Depth=4
	s_cmpk_lt_i32 s81, 0x270f
	s_cselect_b64 s[48:49], -1, 0
	s_cmpk_gt_i32 s81, 0x270e
	s_mov_b64 s[36:37], -1
	s_cbranch_scc0 .LBB2_285
; %bb.284:                              ;   in Loop: Header=BB2_282 Depth=4
	s_trap 2
	ds_read_b64 v[14:15], v0
	s_andn2_b64 s[48:49], s[48:49], exec
	s_mov_b32 s81, 0
	s_mov_b64 s[38:39], 0
	s_waitcnt vmcnt(0) lgkmcnt(0)
	flat_load_dword v0, v[14:15] glc
	s_waitcnt vmcnt(0) lgkmcnt(0)
	buffer_wbinvl1_vol
	v_cmp_eq_u32_e64 s[28:29], 0, v0
	s_and_b64 s[28:29], s[28:29], exec
	s_or_b64 s[48:49], s[48:49], s[28:29]
	s_and_saveexec_b64 s[50:51], s[48:49]
	s_cbranch_execz .LBB2_280
	s_branch .LBB2_279
.LBB2_285:                              ;   in Loop: Header=BB2_282 Depth=4
	s_add_i32 s81, s81, 1
	s_mov_b64 s[38:39], -1
                                        ; implicit-def: $vgpr0
	s_and_saveexec_b64 s[50:51], s[48:49]
	s_cbranch_execz .LBB2_280
	s_branch .LBB2_279
.LBB2_286:                              ;   in Loop: Header=BB2_274 Depth=3
	s_or_b64 exec, exec, s[90:91]
	s_xor_b64 s[28:29], s[92:93], -1
	s_and_saveexec_b64 s[90:91], s[28:29]
	s_xor_b64 s[28:29], exec, s[90:91]
	s_cbranch_execz .LBB2_288
; %bb.287:                              ;   in Loop: Header=BB2_274 Depth=3
	v_or_b32_e32 v60, 64, v60
	s_waitcnt lgkmcnt(0)
	ds_write_b32 v0, v0
	s_trap 2
.LBB2_288:                              ;   in Loop: Header=BB2_274 Depth=3
	s_or_b64 exec, exec, s[28:29]
.LBB2_289:                              ;   in Loop: Header=BB2_274 Depth=3
	s_or_b64 exec, exec, s[88:89]
	v_and_b32_e32 v0, 0x108, v60
	v_cmp_ne_u32_e32 vcc, s54, v0
	;;#ASMSTART
	s_wakeup
	;;#ASMEND
                                        ; implicit-def: $vgpr40_vgpr41
	s_and_saveexec_b64 s[28:29], vcc
	s_xor_b64 s[28:29], exec, s[28:29]
; %bb.290:                              ;   in Loop: Header=BB2_274 Depth=3
	v_and_b32_e32 v40, 7, v38
	v_mov_b32_e32 v41, v2
                                        ; implicit-def: $vgpr38_vgpr39
; %bb.291:                              ;   in Loop: Header=BB2_274 Depth=3
	s_andn2_saveexec_b64 s[28:29], s[28:29]
	s_cbranch_execz .LBB2_293
; %bb.292:                              ;   in Loop: Header=BB2_274 Depth=3
	v_and_b32_e32 v40, 7, v38
	v_mad_u64_u32 v[14:15], s[88:89], v40, 24, v[34:35]
	v_ashrrev_i32_e32 v9, 31, v8
	v_lshlrev_b64 v[16:17], 2, v[8:9]
	v_mov_b32_e32 v41, v2
	flat_store_dwordx2 v[14:15], v[16:17] offset:8
.LBB2_293:                              ;   in Loop: Header=BB2_274 Depth=3
	s_or_b64 exec, exec, s[28:29]
	v_and_b32_e32 v0, 0x100, v60
	v_cmp_ne_u32_e32 vcc, 0, v0
	s_mov_b64 s[28:29], -1
                                        ; implicit-def: $vgpr38_vgpr39
	s_and_saveexec_b64 s[88:89], vcc
	s_cbranch_execz .LBB2_297
; %bb.294:                              ;   in Loop: Header=BB2_274 Depth=3
	v_mad_u64_u32 v[42:43], s[28:29], v40, 24, v[34:35]
                                        ; implicit-def: $vgpr38_vgpr39
	v_mov_b32_e32 v0, v43
	v_mad_u64_u32 v[14:15], s[28:29], v41, 24, v[0:1]
	v_mov_b32_e32 v43, v14
	flat_load_dword v0, v[42:43]
	s_waitcnt vmcnt(0) lgkmcnt(0)
	v_cmp_ne_u32_e32 vcc, 1, v0
	v_cmp_eq_u32_e64 s[28:29], 1, v0
	s_and_saveexec_b64 s[90:91], s[28:29]
	s_cbranch_execz .LBB2_296
; %bb.295:                              ;   in Loop: Header=BB2_274 Depth=3
	flat_load_dword v14, v[42:43] offset:4 glc
	s_waitcnt vmcnt(0) lgkmcnt(0)
	v_ashrrev_i32_e32 v15, 31, v14
	v_lshrrev_b64 v[38:39], 2, v[14:15]
.LBB2_296:                              ;   in Loop: Header=BB2_274 Depth=3
	s_or_b64 exec, exec, s[90:91]
	s_orn2_b64 s[28:29], vcc, exec
.LBB2_297:                              ;   in Loop: Header=BB2_274 Depth=3
	s_or_b64 exec, exec, s[88:89]
	s_and_saveexec_b64 s[88:89], s[28:29]
	s_cbranch_execz .LBB2_299
; %bb.298:                              ;   in Loop: Header=BB2_274 Depth=3
	v_mul_lo_u32 v0, v41, v61
	v_mul_lo_u32 v9, v40, v57
	v_mad_u64_u32 v[38:39], s[28:29], v40, v61, 0
	v_add3_u32 v39, v39, v9, v0
.LBB2_299:                              ;   in Loop: Header=BB2_274 Depth=3
	s_or_b64 exec, exec, s[88:89]
	v_lshlrev_b64 v[14:15], 2, v[38:39]
	v_cmp_eq_u32_e32 vcc, 0, v3
	v_cndmask_b32_e32 v0, v51, v30, vcc
	v_add_co_u32_e32 v14, vcc, v6, v14
	v_addc_co_u32_e32 v15, vcc, v7, v15, vcc
	v_add_u32_e32 v0, v0, v0
	ds_write_b64 v0, v[14:15] offset:584
	v_and_b32_e32 v0, 0x2000, v60
	v_cmp_ne_u32_e32 vcc, 0, v0
	s_and_saveexec_b64 s[28:29], vcc
	s_cbranch_execz .LBB2_301
; %bb.300:                              ;   in Loop: Header=BB2_274 Depth=3
	ds_read_b64 v[14:15], v0 offset:872
	s_waitcnt lgkmcnt(0)
	v_add_co_u32_e32 v14, vcc, 1, v14
	v_addc_co_u32_e32 v15, vcc, 0, v15, vcc
	ds_write_b64 v0, v[14:15] offset:872
.LBB2_301:                              ;   in Loop: Header=BB2_274 Depth=3
	s_or_b64 exec, exec, s[28:29]
	v_mov_b32_e32 v38, v54
	v_mov_b32_e32 v39, v55
.LBB2_302:                              ;   in Loop: Header=BB2_274 Depth=3
	s_or_b64 exec, exec, s[78:79]
	s_and_saveexec_b64 s[28:29], s[10:11]
	s_cbranch_execz .LBB2_321
; %bb.303:                              ;   in Loop: Header=BB2_274 Depth=3
	s_and_saveexec_b64 s[78:79], s[56:57]
	s_xor_b64 s[78:79], exec, s[78:79]
	s_cbranch_execz .LBB2_318
; %bb.304:                              ;   in Loop: Header=BB2_274 Depth=3
	s_and_saveexec_b64 s[88:89], s[16:17]
	s_cbranch_execz .LBB2_317
; %bb.305:                              ;   in Loop: Header=BB2_274 Depth=3
	s_mov_b64 s[92:93], exec
	v_mbcnt_lo_u32_b32 v0, s92, 0
	v_mbcnt_hi_u32_b32 v0, s93, v0
	v_cmp_eq_u32_e32 vcc, 0, v0
	s_waitcnt vmcnt(0) lgkmcnt(0)
	buffer_wbinvl1_vol
	s_and_saveexec_b64 s[90:91], vcc
	s_cbranch_execz .LBB2_307
; %bb.306:                              ;   in Loop: Header=BB2_274 Depth=3
	s_bcnt1_i32_b64 s92, s[92:93]
	v_mov_b32_e32 v14, s92
	v_mov_b32_e32 v15, v2
	ds_add_u64 v0, v[14:15]
	s_trap 2
.LBB2_307:                              ;   in Loop: Header=BB2_274 Depth=3
	s_or_b64 exec, exec, s[90:91]
	s_trap 2
	ds_read_b64 v[14:15], v0
	s_waitcnt lgkmcnt(0)
	v_add_co_u32_e32 v12, vcc, v12, v62
	v_addc_co_u32_e32 v13, vcc, 0, v13, vcc
	v_cmp_lt_u64_e32 vcc, v[14:15], v[12:13]
	s_and_saveexec_b64 s[90:91], vcc
	s_cbranch_execz .LBB2_316
; %bb.308:                              ;   in Loop: Header=BB2_274 Depth=3
	s_mov_b32 s38, 0
	s_mov_b64 s[92:93], 0
                                        ; implicit-def: $sgpr94_sgpr95
                                        ; implicit-def: $sgpr30_sgpr31
	s_branch .LBB2_310
.LBB2_309:                              ;   in Loop: Header=BB2_310 Depth=4
	s_or_b64 exec, exec, s[36:37]
	s_and_b64 vcc, exec, vcc
	s_or_b64 s[92:93], vcc, s[92:93]
	s_andn2_b64 s[94:95], s[94:95], exec
	s_and_b64 vcc, s[30:31], exec
	s_or_b64 s[94:95], s[94:95], vcc
	s_andn2_b64 exec, exec, s[92:93]
	s_cbranch_execz .LBB2_314
.LBB2_310:                              ;   Parent Loop BB2_47 Depth=1
                                        ;     Parent Loop BB2_271 Depth=2
                                        ;       Parent Loop BB2_274 Depth=3
                                        ; =>      This Inner Loop Header: Depth=4
	s_add_i32 s38, s38, 1
	s_cmpk_lg_i32 s38, 0x2710
	s_cselect_b64 s[34:35], -1, 0
	s_and_b64 vcc, exec, s[34:35]
	s_cbranch_vccz .LBB2_312
; %bb.311:                              ;   in Loop: Header=BB2_310 Depth=4
	s_mov_b64 vcc, -1
	s_or_b64 s[30:31], s[30:31], exec
	s_and_saveexec_b64 s[36:37], s[34:35]
	s_cbranch_execz .LBB2_309
	s_branch .LBB2_313
.LBB2_312:                              ;   in Loop: Header=BB2_310 Depth=4
	s_trap 2
	ds_read_b64 v[14:15], v0
	s_andn2_b64 s[34:35], s[34:35], exec
	s_mov_b32 s38, 0
	s_waitcnt lgkmcnt(0)
	flat_load_dword v0, v[14:15] glc
	s_waitcnt vmcnt(0) lgkmcnt(0)
	buffer_wbinvl1_vol
	v_cmp_eq_u32_e32 vcc, 0, v0
	s_and_b64 vcc, vcc, exec
	s_or_b64 s[34:35], s[34:35], vcc
	s_mov_b64 vcc, -1
	s_or_b64 s[30:31], s[30:31], exec
	s_and_saveexec_b64 s[36:37], s[34:35]
	s_cbranch_execz .LBB2_309
.LBB2_313:                              ;   in Loop: Header=BB2_310 Depth=4
	s_sleep 1
	s_trap 2
	ds_read_b64 v[14:15], v0
	s_waitcnt lgkmcnt(0)
	s_andn2_b64 s[30:31], s[30:31], exec
	v_cmp_ge_u64_e32 vcc, v[14:15], v[12:13]
	s_orn2_b64 vcc, vcc, exec
	s_branch .LBB2_309
.LBB2_314:                              ;   in Loop: Header=BB2_274 Depth=3
	s_or_b64 exec, exec, s[92:93]
	s_and_saveexec_b64 s[92:93], s[94:95]
	s_xor_b64 s[92:93], exec, s[92:93]
	s_cbranch_execz .LBB2_316
; %bb.315:                              ;   in Loop: Header=BB2_274 Depth=3
	ds_write_b32 v0, v28
	s_trap 2
.LBB2_316:                              ;   in Loop: Header=BB2_274 Depth=3
	s_or_b64 exec, exec, s[90:91]
	;;#ASMSTART
	s_wakeup
	;;#ASMEND
.LBB2_317:                              ;   in Loop: Header=BB2_274 Depth=3
	s_or_b64 exec, exec, s[88:89]
.LBB2_318:                              ;   in Loop: Header=BB2_274 Depth=3
	s_andn2_saveexec_b64 s[78:79], s[78:79]
	s_cbranch_execz .LBB2_320
; %bb.319:                              ;   in Loop: Header=BB2_274 Depth=3
	s_waitcnt vmcnt(0) lgkmcnt(0)
	buffer_wbinvl1_vol
	s_barrier
.LBB2_320:                              ;   in Loop: Header=BB2_274 Depth=3
	s_or_b64 exec, exec, s[78:79]
.LBB2_321:                              ;   in Loop: Header=BB2_274 Depth=3
	s_or_b64 exec, exec, s[28:29]
	s_trap 2
	ds_read_b32 v0, v0
	v_and_b32_e32 v3, 0x4000, v60
	v_cmp_ne_u32_e32 vcc, 0, v3
	s_xor_b64 s[28:29], s[6:7], -1
	s_and_b64 s[78:79], s[28:29], vcc
	s_and_saveexec_b64 s[28:29], s[78:79]
	s_cbranch_execz .LBB2_340
; %bb.322:                              ;   in Loop: Header=BB2_274 Depth=3
	s_and_saveexec_b64 s[78:79], s[56:57]
	s_xor_b64 s[78:79], exec, s[78:79]
	s_cbranch_execz .LBB2_337
; %bb.323:                              ;   in Loop: Header=BB2_274 Depth=3
	s_and_saveexec_b64 s[88:89], s[16:17]
	s_cbranch_execz .LBB2_336
; %bb.324:                              ;   in Loop: Header=BB2_274 Depth=3
	s_mov_b64 s[92:93], exec
	v_mbcnt_lo_u32_b32 v3, s92, 0
	v_mbcnt_hi_u32_b32 v3, s93, v3
	v_cmp_eq_u32_e32 vcc, 0, v3
	s_waitcnt vmcnt(0) lgkmcnt(0)
	buffer_wbinvl1_vol
	s_and_saveexec_b64 s[90:91], vcc
	s_cbranch_execz .LBB2_326
; %bb.325:                              ;   in Loop: Header=BB2_274 Depth=3
	s_bcnt1_i32_b64 s92, s[92:93]
	v_mov_b32_e32 v14, s92
	v_mov_b32_e32 v15, v2
	ds_add_u64 v0, v[14:15]
	s_trap 2
.LBB2_326:                              ;   in Loop: Header=BB2_274 Depth=3
	s_or_b64 exec, exec, s[90:91]
	s_trap 2
	ds_read_b64 v[14:15], v0
	s_waitcnt lgkmcnt(0)
	v_add_co_u32_e32 v12, vcc, v12, v62
	v_addc_co_u32_e32 v13, vcc, 0, v13, vcc
	v_cmp_lt_u64_e32 vcc, v[14:15], v[12:13]
	s_and_saveexec_b64 s[90:91], vcc
	s_cbranch_execz .LBB2_335
; %bb.327:                              ;   in Loop: Header=BB2_274 Depth=3
	s_mov_b32 s38, 0
	s_mov_b64 s[92:93], 0
                                        ; implicit-def: $sgpr94_sgpr95
                                        ; implicit-def: $sgpr30_sgpr31
	s_branch .LBB2_329
.LBB2_328:                              ;   in Loop: Header=BB2_329 Depth=4
	s_or_b64 exec, exec, s[36:37]
	s_and_b64 vcc, exec, vcc
	s_or_b64 s[92:93], vcc, s[92:93]
	s_andn2_b64 s[94:95], s[94:95], exec
	s_and_b64 vcc, s[30:31], exec
	s_or_b64 s[94:95], s[94:95], vcc
	s_andn2_b64 exec, exec, s[92:93]
	s_cbranch_execz .LBB2_333
.LBB2_329:                              ;   Parent Loop BB2_47 Depth=1
                                        ;     Parent Loop BB2_271 Depth=2
                                        ;       Parent Loop BB2_274 Depth=3
                                        ; =>      This Inner Loop Header: Depth=4
	s_add_i32 s38, s38, 1
	s_cmpk_lg_i32 s38, 0x2710
	s_cselect_b64 s[34:35], -1, 0
	s_and_b64 vcc, exec, s[34:35]
	s_cbranch_vccz .LBB2_331
; %bb.330:                              ;   in Loop: Header=BB2_329 Depth=4
	s_mov_b64 vcc, -1
	s_or_b64 s[30:31], s[30:31], exec
	s_and_saveexec_b64 s[36:37], s[34:35]
	s_cbranch_execz .LBB2_328
	s_branch .LBB2_332
.LBB2_331:                              ;   in Loop: Header=BB2_329 Depth=4
	s_trap 2
	ds_read_b64 v[14:15], v0
	s_andn2_b64 s[34:35], s[34:35], exec
	s_mov_b32 s38, 0
	s_waitcnt lgkmcnt(0)
	flat_load_dword v3, v[14:15] glc
	s_waitcnt vmcnt(0) lgkmcnt(0)
	buffer_wbinvl1_vol
	v_cmp_eq_u32_e32 vcc, 0, v3
	s_and_b64 vcc, vcc, exec
	s_or_b64 s[34:35], s[34:35], vcc
	s_mov_b64 vcc, -1
	s_or_b64 s[30:31], s[30:31], exec
	s_and_saveexec_b64 s[36:37], s[34:35]
	s_cbranch_execz .LBB2_328
.LBB2_332:                              ;   in Loop: Header=BB2_329 Depth=4
	s_sleep 1
	s_trap 2
	ds_read_b64 v[14:15], v0
	s_waitcnt lgkmcnt(0)
	s_andn2_b64 s[30:31], s[30:31], exec
	v_cmp_ge_u64_e32 vcc, v[14:15], v[12:13]
	s_orn2_b64 vcc, vcc, exec
	s_branch .LBB2_328
.LBB2_333:                              ;   in Loop: Header=BB2_274 Depth=3
	s_or_b64 exec, exec, s[92:93]
	s_and_saveexec_b64 s[92:93], s[94:95]
	s_xor_b64 s[92:93], exec, s[92:93]
	s_cbranch_execz .LBB2_335
; %bb.334:                              ;   in Loop: Header=BB2_274 Depth=3
	ds_write_b32 v0, v28
	s_trap 2
.LBB2_335:                              ;   in Loop: Header=BB2_274 Depth=3
	s_or_b64 exec, exec, s[90:91]
	;;#ASMSTART
	s_wakeup
	;;#ASMEND
.LBB2_336:                              ;   in Loop: Header=BB2_274 Depth=3
	s_or_b64 exec, exec, s[88:89]
.LBB2_337:                              ;   in Loop: Header=BB2_274 Depth=3
	s_andn2_saveexec_b64 s[78:79], s[78:79]
	s_cbranch_execz .LBB2_339
; %bb.338:                              ;   in Loop: Header=BB2_274 Depth=3
	s_waitcnt vmcnt(0) lgkmcnt(0)
	buffer_wbinvl1_vol
	s_barrier
.LBB2_339:                              ;   in Loop: Header=BB2_274 Depth=3
	s_or_b64 exec, exec, s[78:79]
.LBB2_340:                              ;   in Loop: Header=BB2_274 Depth=3
	s_or_b64 exec, exec, s[28:29]
	s_trap 2
	s_waitcnt lgkmcnt(0)
	ds_read_b64 v[54:55], v0
	s_waitcnt lgkmcnt(0)
	v_cmp_eq_u64_e32 vcc, 0, v[54:55]
	s_cbranch_vccnz .LBB2_348
; %bb.341:                              ;   in Loop: Header=BB2_274 Depth=3
	s_trap 2
	ds_read_b64 v[40:41], v0
	s_waitcnt lgkmcnt(0)
	v_cmp_eq_u64_e32 vcc, 0, v[40:41]
	s_cbranch_vccnz .LBB2_348
; %bb.342:                              ;   in Loop: Header=BB2_274 Depth=3
	s_mov_b64 s[28:29], -1
	s_and_saveexec_b64 s[78:79], s[22:23]
	s_cbranch_execz .LBB2_344
; %bb.343:                              ;   in Loop: Header=BB2_274 Depth=3
	ds_read_b32 v3, v0 offset:720
	s_waitcnt lgkmcnt(0)
	v_and_b32_e32 v3, 15, v3
	v_cmp_eq_u32_e32 vcc, 0, v3
	s_orn2_b64 s[28:29], vcc, exec
.LBB2_344:                              ;   in Loop: Header=BB2_274 Depth=3
	s_or_b64 exec, exec, s[78:79]
	s_and_saveexec_b64 s[78:79], s[20:21]
	s_cbranch_execz .LBB2_346
; %bb.345:                              ;   in Loop: Header=BB2_274 Depth=3
	ds_read_b32 v3, v0 offset:784
	s_waitcnt lgkmcnt(0)
	v_and_b32_e32 v3, 15, v3
	v_cmp_eq_u32_e32 vcc, 0, v3
	s_and_b64 s[88:89], s[28:29], vcc
	s_andn2_b64 s[28:29], s[28:29], exec
	s_and_b64 s[88:89], s[88:89], exec
	s_or_b64 s[28:29], s[28:29], s[88:89]
.LBB2_346:                              ;   in Loop: Header=BB2_274 Depth=3
	s_or_b64 exec, exec, s[78:79]
	v_cmp_eq_u32_e32 vcc, 0, v0
	s_xor_b64 s[28:29], s[28:29], -1
	v_cndmask_b32_e32 v3, 0, v8, vcc
	v_cndmask_b32_e64 v0, 0, 1, s[28:29]
	v_lshlrev_b32_e32 v9, 2, v3
	s_mov_b64 s[88:89], -1
	v_cmp_ne_u32_e32 vcc, 0, v0
	v_mov_b32_e32 v11, 0
	s_cbranch_vccz .LBB2_349
; %bb.347:                              ;   in Loop: Header=BB2_274 Depth=3
	buffer_load_dword v37, off, s[0:3], s33 offset:68 ; 4-byte Folded Reload
	v_mov_b32_e32 v0, v58
	s_and_saveexec_b64 s[28:29], s[88:89]
	s_cbranch_execnz .LBB2_362
	s_branch .LBB2_370
.LBB2_348:                              ;   in Loop: Header=BB2_274 Depth=3
	s_mov_b64 s[28:29], 0
	s_and_saveexec_b64 s[78:79], s[10:11]
	s_cbranch_execnz .LBB2_371
	s_branch .LBB2_389
.LBB2_349:                              ;   in Loop: Header=BB2_274 Depth=3
	v_ashrrev_i32_e32 v11, 31, v9
	v_lshrrev_b32_e32 v11, 22, v11
	v_add_u32_e32 v11, v9, v11
	v_ashrrev_i32_e32 v14, 10, v11
	v_and_b32_e32 v15, 0xfffffc00, v11
	buffer_load_dword v11, off, s[0:3], s33 offset:88 ; 4-byte Folded Reload
	v_sub_u32_e32 v18, v9, v15
	v_cmp_lt_i32_e32 vcc, 15, v18
	s_waitcnt vmcnt(0)
	v_sub_u32_e32 v0, v9, v50
	s_waitcnt vmcnt(0)
	v_addc_co_u32_e64 v19, s[28:29], v14, v11, vcc
	v_cmp_lt_i32_e64 s[28:29], 15, v0
	s_and_saveexec_b64 s[78:79], s[28:29]
	s_cbranch_execz .LBB2_353
; %bb.350:                              ;   in Loop: Header=BB2_274 Depth=3
	s_trap 2
	buffer_load_dword v11, off, s[0:3], s33 offset:124 ; 4-byte Folded Reload
	ds_read_b64 v[16:17], v0
	v_add_co_u32_e64 v42, s[28:29], v54, v50
	s_mov_b64 s[88:89], 0
	s_waitcnt vmcnt(0)
	v_addc_co_u32_e64 v43, s[28:29], v55, v11, s[28:29]
	s_waitcnt lgkmcnt(0)
	v_add_co_u32_e64 v44, s[28:29], v16, v50
	v_addc_co_u32_e64 v45, s[28:29], v17, v11, s[28:29]
	v_add_co_u32_e64 v46, s[28:29], v40, v50
	v_addc_co_u32_e64 v47, s[28:29], v41, v11, s[28:29]
.LBB2_351:                              ;   Parent Loop BB2_47 Depth=1
                                        ;     Parent Loop BB2_271 Depth=2
                                        ;       Parent Loop BB2_274 Depth=3
                                        ; =>      This Inner Loop Header: Depth=4
	global_load_dwordx4 v[48:51], v[42:43], off glc slc
	global_load_dwordx4 v[34:37], v[44:45], off glc slc
	v_add_co_u32_e64 v42, s[28:29], v42, v32
	v_addc_co_u32_e64 v43, s[28:29], 0, v43, s[28:29]
	v_add_co_u32_e64 v44, s[28:29], v44, v32
	v_addc_co_u32_e64 v45, s[28:29], 0, v45, s[28:29]
	v_sub_u32_e32 v0, v0, v32
	v_cmp_gt_i32_e64 s[28:29], 16, v0
	s_or_b64 s[88:89], s[28:29], s[88:89]
	v_sub_u32_e32 v19, v19, v62
	s_waitcnt vmcnt(0)
	v_mul_f32_e32 v34, v48, v34
	v_mul_f32_e32 v35, v49, v35
	;; [unrolled: 1-line block ×4, first 2 shown]
	global_store_dwordx4 v[46:47], v[34:37], off glc slc
	v_add_co_u32_e64 v46, s[28:29], v46, v32
	v_addc_co_u32_e64 v47, s[28:29], 0, v47, s[28:29]
	s_andn2_b64 exec, exec, s[88:89]
	s_cbranch_execnz .LBB2_351
; %bb.352:                              ;   in Loop: Header=BB2_274 Depth=3
	s_or_b64 exec, exec, s[88:89]
	buffer_load_dword v50, off, s[0:3], s33 offset:100 ; 4-byte Folded Reload
	v_mov_b32_e32 v51, 0xc8
	v_lshlrev_b32_e32 v46, 11, v62
.LBB2_353:                              ;   in Loop: Header=BB2_274 Depth=3
	s_or_b64 exec, exec, s[78:79]
	v_and_b32_e32 v30, 12, v9
	v_cndmask_b32_e32 v14, v18, v30, vcc
	v_mov_b32_e32 v11, 0
	v_cmp_ne_u32_e64 s[28:29], 0, v14
	s_mov_b64 s[88:89], 0
                                        ; implicit-def: $vgpr9
                                        ; implicit-def: $vgpr0
                                        ; implicit-def: $vgpr37
	s_and_saveexec_b64 s[78:79], s[28:29]
	s_cbranch_execz .LBB2_361
; %bb.354:                              ;   in Loop: Header=BB2_274 Depth=3
	buffer_load_dword v9, off, s[0:3], s33 offset:104 ; 4-byte Folded Reload
	v_sub_u32_e32 v0, v18, v30
	v_cndmask_b32_e32 v0, 0, v0, vcc
	v_cmp_lt_i32_e32 vcc, 0, v19
	v_add_u32_e32 v18, v0, v15
	v_cndmask_b32_e32 v0, 0, v62, vcc
	v_sub_u32_e32 v0, v0, v19
	v_ashrrev_i32_e32 v15, 31, v14
	v_lshrrev_b32_e32 v15, 22, v15
	v_add_u32_e32 v15, v14, v15
	v_ashrrev_i32_e32 v16, 10, v15
	v_and_b32_e32 v15, 0xfffffc00, v15
	v_sub_u32_e32 v36, v14, v15
	v_cmp_lt_i32_e32 vcc, 15, v36
	v_addc_co_u32_e64 v16, s[28:29], 0, v16, vcc
	s_waitcnt vmcnt(0)
	v_lshl_add_u32 v0, v0, 6, v9
	v_ashrrev_i32_e32 v9, 31, v0
	v_lshrrev_b32_e32 v9, 26, v9
	v_add_u32_e32 v9, v0, v9
	v_ashrrev_i32_e32 v11, 6, v9
	v_and_b32_e32 v9, 0xffffffc0, v9
	v_sub_u32_e32 v19, v0, v9
	v_lshlrev_b32_e32 v0, 4, v19
	v_lshl_add_u32 v9, v11, 10, v0
	v_sub_u32_e32 v0, v14, v9
	v_sub_u32_e32 v30, v16, v11
	v_cmp_lt_i32_e64 s[28:29], 15, v0
	s_and_saveexec_b64 s[88:89], s[28:29]
	s_cbranch_execz .LBB2_358
; %bb.355:                              ;   in Loop: Header=BB2_274 Depth=3
	s_trap 2
	ds_read_b64 v[16:17], v0
	v_add_u32_e32 v9, v9, v18
	v_ashrrev_i32_e32 v11, 31, v9
	v_add_co_u32_e64 v42, s[28:29], v9, v54
	v_addc_co_u32_e64 v43, s[28:29], v11, v55, s[28:29]
	s_waitcnt lgkmcnt(0)
	v_add_co_u32_e64 v44, s[28:29], v16, v9
	v_addc_co_u32_e64 v45, s[28:29], v17, v11, s[28:29]
	v_add_co_u32_e64 v46, s[28:29], v9, v40
	v_addc_co_u32_e64 v47, s[28:29], v11, v41, s[28:29]
	s_mov_b64 s[90:91], 0
.LBB2_356:                              ;   Parent Loop BB2_47 Depth=1
                                        ;     Parent Loop BB2_271 Depth=2
                                        ;       Parent Loop BB2_274 Depth=3
                                        ; =>      This Inner Loop Header: Depth=4
	global_load_dwordx4 v[48:51], v[42:43], off glc slc
	global_load_dwordx4 v[22:25], v[44:45], off glc slc
	v_add_co_u32_e64 v42, s[28:29], v42, v32
	v_addc_co_u32_e64 v43, s[28:29], 0, v43, s[28:29]
	v_add_co_u32_e64 v44, s[28:29], v44, v32
	v_addc_co_u32_e64 v45, s[28:29], 0, v45, s[28:29]
	v_sub_u32_e32 v0, v0, v32
	v_cmp_gt_i32_e64 s[28:29], 16, v0
	s_or_b64 s[90:91], s[28:29], s[90:91]
	v_sub_u32_e32 v30, v30, v62
	s_waitcnt vmcnt(0)
	v_mul_f32_e32 v22, v48, v22
	v_mul_f32_e32 v23, v49, v23
	;; [unrolled: 1-line block ×4, first 2 shown]
	global_store_dwordx4 v[46:47], v[22:25], off glc slc
	v_add_co_u32_e64 v46, s[28:29], v46, v32
	v_addc_co_u32_e64 v47, s[28:29], 0, v47, s[28:29]
	s_andn2_b64 exec, exec, s[90:91]
	s_cbranch_execnz .LBB2_356
; %bb.357:                              ;   in Loop: Header=BB2_274 Depth=3
	s_or_b64 exec, exec, s[90:91]
	buffer_load_dword v24, off, s[0:3], s33 offset:128 ; 4-byte Folded Reload
	buffer_load_dword v25, off, s[0:3], s33 offset:132 ; 4-byte Folded Reload
	;; [unrolled: 1-line block ×5, first 2 shown]
	v_mov_b32_e32 v51, 0xc8
	v_lshlrev_b32_e32 v46, 11, v62
.LBB2_358:                              ;   in Loop: Header=BB2_274 Depth=3
	s_or_b64 exec, exec, s[88:89]
	v_and_b32_e32 v14, 12, v14
	v_cndmask_b32_e32 v9, v36, v14, vcc
	v_mov_b32_e32 v11, 0
	v_cmp_ne_u32_e64 s[28:29], 0, v9
	s_mov_b64 s[90:91], 0
                                        ; implicit-def: $vgpr0
                                        ; implicit-def: $vgpr37
	s_and_saveexec_b64 s[88:89], s[28:29]
	s_cbranch_execz .LBB2_360
; %bb.359:                              ;   in Loop: Header=BB2_274 Depth=3
	v_sub_u32_e32 v0, v36, v14
	v_cndmask_b32_e32 v0, 0, v0, vcc
	v_cmp_lt_i32_e32 vcc, 0, v30
	v_add3_u32 v11, v15, v18, v0
	v_cndmask_b32_e32 v0, 0, v62, vcc
	v_sub_u32_e32 v0, v0, v30
	v_lshl_add_u32 v0, v0, 6, v19
	v_ashrrev_i32_e32 v14, 31, v0
	v_lshrrev_b32_e32 v14, 26, v14
	v_add_u32_e32 v14, v0, v14
	v_ashrrev_i32_e32 v37, 6, v14
	s_mov_b64 s[90:91], exec
.LBB2_360:                              ;   in Loop: Header=BB2_274 Depth=3
	s_or_b64 exec, exec, s[88:89]
	s_and_b64 s[88:89], s[90:91], exec
.LBB2_361:                              ;   in Loop: Header=BB2_274 Depth=3
	s_or_b64 exec, exec, s[78:79]
	v_mov_b32_e32 v30, 0x90
	s_and_saveexec_b64 s[28:29], s[88:89]
	s_cbranch_execz .LBB2_370
.LBB2_362:                              ;   in Loop: Header=BB2_274 Depth=3
	v_ashrrev_i32_e32 v14, 31, v9
	v_lshrrev_b32_e32 v14, 23, v14
	v_add_u32_e32 v14, v9, v14
	v_ashrrev_i32_e32 v18, 9, v14
	s_waitcnt vmcnt(0)
	v_sub_u32_e32 v14, v18, v37
	v_ashrrev_i32_e32 v15, 31, v0
	v_cmp_lt_i32_e32 vcc, 0, v14
	v_lshrrev_b32_e32 v15, 26, v15
	s_and_saveexec_b64 s[78:79], vcc
	s_cbranch_execz .LBB2_366
; %bb.363:                              ;   in Loop: Header=BB2_274 Depth=3
	v_add_u32_e32 v16, v0, v15
	v_and_b32_e32 v16, 0x3fffffc0, v16
	v_sub_u32_e32 v16, v0, v16
	v_lshlrev_b32_e32 v16, 2, v16
	v_lshlrev_b32_e32 v17, 9, v37
	v_add3_u32 v19, v16, v11, v17
	s_trap 2
	ds_read_b64 v[16:17], v0
	v_ashrrev_i32_e32 v22, 31, v19
	v_add_co_u32_e32 v42, vcc, v19, v54
	v_addc_co_u32_e32 v43, vcc, v22, v55, vcc
	s_waitcnt lgkmcnt(0)
	v_add_co_u32_e32 v44, vcc, v16, v19
	v_addc_co_u32_e32 v45, vcc, v17, v22, vcc
	v_add_co_u32_e32 v46, vcc, v19, v40
	v_addc_co_u32_e32 v47, vcc, v22, v41, vcc
	s_mov_b64 s[88:89], 0
.LBB2_364:                              ;   Parent Loop BB2_47 Depth=1
                                        ;     Parent Loop BB2_271 Depth=2
                                        ;       Parent Loop BB2_274 Depth=3
                                        ; =>      This Inner Loop Header: Depth=4
	flat_load_dword v16, v[42:43] glc slc
	flat_load_dword v17, v[42:43] offset:256 glc slc
	flat_load_dword v19, v[44:45] glc slc
	flat_load_dword v22, v[44:45] offset:256 glc slc
	v_add_co_u32_e32 v42, vcc, v42, v33
	v_addc_co_u32_e32 v43, vcc, 0, v43, vcc
	v_add_co_u32_e32 v44, vcc, v44, v33
	v_addc_co_u32_e32 v45, vcc, 0, v45, vcc
	v_sub_u32_e32 v14, v14, v62
	v_cmp_gt_i32_e32 vcc, 1, v14
	s_or_b64 s[88:89], vcc, s[88:89]
	s_waitcnt vmcnt(0) lgkmcnt(0)
	v_mul_f32_e32 v16, v16, v19
	v_mul_f32_e32 v17, v17, v22
	flat_store_dword v[46:47], v16 glc slc
	flat_store_dword v[46:47], v17 offset:256 glc slc
	v_add_co_u32_e32 v46, vcc, v46, v33
	v_addc_co_u32_e32 v47, vcc, 0, v47, vcc
	s_andn2_b64 exec, exec, s[88:89]
	s_cbranch_execnz .LBB2_364
; %bb.365:                              ;   in Loop: Header=BB2_274 Depth=3
	s_or_b64 exec, exec, s[88:89]
	buffer_load_dword v22, off, s[0:3], s33 offset:92 ; 4-byte Folded Reload
	buffer_load_dword v23, off, s[0:3], s33 offset:96 ; 4-byte Folded Reload
	v_lshlrev_b32_e32 v46, 11, v62
.LBB2_366:                              ;   in Loop: Header=BB2_274 Depth=3
	s_or_b64 exec, exec, s[78:79]
	v_lshlrev_b32_e32 v18, 9, v18
	v_cmp_ne_u32_e32 vcc, v9, v18
	s_and_b64 exec, exec, vcc
	s_cbranch_execz .LBB2_370
; %bb.367:                              ;   in Loop: Header=BB2_274 Depth=3
	v_add_u32_e32 v15, v0, v15
	v_and_b32_e32 v15, 0xffffffc0, v15
	v_sub_u32_e32 v0, v0, v15
	v_lshlrev_b32_e32 v14, 6, v14
	v_sub_u32_e32 v0, v0, v14
	v_ashrrev_i32_e32 v14, 31, v0
	v_lshrrev_b32_e32 v14, 26, v14
	v_add_u32_e32 v14, v0, v14
	v_and_b32_e32 v15, 0x3fffffc0, v14
	v_sub_u32_e32 v0, v0, v15
	v_lshlrev_b32_e32 v14, 2, v14
	v_and_b32_e32 v14, 0xffffff00, v14
	v_lshlrev_b32_e32 v0, 2, v0
	v_add3_u32 v14, v14, v0, v18
	v_sub_u32_e32 v0, v9, v14
	v_cmp_lt_i32_e32 vcc, 3, v0
	s_and_b64 exec, exec, vcc
	s_cbranch_execz .LBB2_370
; %bb.368:                              ;   in Loop: Header=BB2_274 Depth=3
	v_add_u32_e32 v9, v14, v11
	s_trap 2
	ds_read_b64 v[14:15], v0
	v_ashrrev_i32_e32 v11, 31, v9
	v_add_co_u32_e32 v54, vcc, v9, v54
	v_addc_co_u32_e32 v55, vcc, v11, v55, vcc
	s_waitcnt lgkmcnt(0)
	v_add_co_u32_e32 v42, vcc, v14, v9
	v_addc_co_u32_e32 v43, vcc, v15, v11, vcc
	v_add_co_u32_e32 v40, vcc, v9, v40
	v_addc_co_u32_e32 v41, vcc, v11, v41, vcc
	s_mov_b64 s[78:79], 0
.LBB2_369:                              ;   Parent Loop BB2_47 Depth=1
                                        ;     Parent Loop BB2_271 Depth=2
                                        ;       Parent Loop BB2_274 Depth=3
                                        ; =>      This Inner Loop Header: Depth=4
	flat_load_dword v9, v[54:55] glc slc
	flat_load_dword v11, v[42:43] glc slc
	v_add_co_u32_e32 v54, vcc, v54, v4
	v_addc_co_u32_e32 v55, vcc, 0, v55, vcc
	v_add_co_u32_e32 v42, vcc, v42, v4
	v_addc_co_u32_e32 v43, vcc, 0, v43, vcc
	v_sub_u32_e32 v0, v0, v4
	v_cmp_gt_i32_e32 vcc, 4, v0
	s_or_b64 s[78:79], vcc, s[78:79]
	s_waitcnt vmcnt(0) lgkmcnt(0)
	v_mul_f32_e32 v9, v9, v11
	flat_store_dword v[40:41], v9 glc slc
	v_add_co_u32_e32 v40, vcc, v40, v4
	v_addc_co_u32_e32 v41, vcc, 0, v41, vcc
	s_andn2_b64 exec, exec, s[78:79]
	s_cbranch_execnz .LBB2_369
.LBB2_370:                              ;   in Loop: Header=BB2_274 Depth=3
	s_or_b64 exec, exec, s[28:29]
	buffer_load_dword v34, off, s[0:3], s33 offset:72 ; 4-byte Folded Reload
	buffer_load_dword v35, off, s[0:3], s33 offset:76 ; 4-byte Folded Reload
	;; [unrolled: 1-line block ×4, first 2 shown]
	v_cmp_lt_i32_e64 s[28:29], 0, v3
	s_and_saveexec_b64 s[78:79], s[10:11]
	s_cbranch_execz .LBB2_389
.LBB2_371:                              ;   in Loop: Header=BB2_274 Depth=3
	s_and_saveexec_b64 s[88:89], s[56:57]
	s_xor_b64 s[88:89], exec, s[88:89]
	s_cbranch_execz .LBB2_386
; %bb.372:                              ;   in Loop: Header=BB2_274 Depth=3
	s_and_saveexec_b64 s[90:91], s[16:17]
	s_cbranch_execz .LBB2_385
; %bb.373:                              ;   in Loop: Header=BB2_274 Depth=3
	s_mov_b64 s[94:95], exec
	v_mbcnt_lo_u32_b32 v0, s94, 0
	v_mbcnt_hi_u32_b32 v0, s95, v0
	v_cmp_eq_u32_e32 vcc, 0, v0
	s_waitcnt vmcnt(0) lgkmcnt(0)
	buffer_wbinvl1_vol
	s_and_saveexec_b64 s[92:93], vcc
	s_cbranch_execz .LBB2_375
; %bb.374:                              ;   in Loop: Header=BB2_274 Depth=3
	s_bcnt1_i32_b64 s94, s[94:95]
	v_mov_b32_e32 v14, s94
	v_mov_b32_e32 v15, v2
	ds_add_u64 v0, v[14:15]
	s_trap 2
.LBB2_375:                              ;   in Loop: Header=BB2_274 Depth=3
	s_or_b64 exec, exec, s[92:93]
	s_trap 2
	ds_read_b64 v[14:15], v0
	s_waitcnt lgkmcnt(0)
	v_add_co_u32_e32 v12, vcc, v12, v62
	v_addc_co_u32_e32 v13, vcc, 0, v13, vcc
	v_cmp_lt_u64_e32 vcc, v[14:15], v[12:13]
	s_and_saveexec_b64 s[92:93], vcc
	s_cbranch_execz .LBB2_384
; %bb.376:                              ;   in Loop: Header=BB2_274 Depth=3
	s_mov_b32 s48, 0
	s_mov_b64 s[94:95], 0
                                        ; implicit-def: $sgpr30_sgpr31
                                        ; implicit-def: $sgpr34_sgpr35
	s_branch .LBB2_378
.LBB2_377:                              ;   in Loop: Header=BB2_378 Depth=4
	s_or_b64 exec, exec, s[38:39]
	s_and_b64 vcc, exec, vcc
	s_or_b64 s[94:95], vcc, s[94:95]
	s_andn2_b64 vcc, s[30:31], exec
	s_and_b64 s[30:31], s[34:35], exec
	s_or_b64 s[30:31], vcc, s[30:31]
	s_andn2_b64 exec, exec, s[94:95]
	s_cbranch_execz .LBB2_382
.LBB2_378:                              ;   Parent Loop BB2_47 Depth=1
                                        ;     Parent Loop BB2_271 Depth=2
                                        ;       Parent Loop BB2_274 Depth=3
                                        ; =>      This Inner Loop Header: Depth=4
	s_add_i32 s48, s48, 1
	s_cmpk_lg_i32 s48, 0x2710
	s_cselect_b64 s[36:37], -1, 0
	s_and_b64 vcc, exec, s[36:37]
	s_cbranch_vccz .LBB2_380
; %bb.379:                              ;   in Loop: Header=BB2_378 Depth=4
	s_mov_b64 vcc, -1
	s_or_b64 s[34:35], s[34:35], exec
	s_and_saveexec_b64 s[38:39], s[36:37]
	s_cbranch_execz .LBB2_377
	s_branch .LBB2_381
.LBB2_380:                              ;   in Loop: Header=BB2_378 Depth=4
	s_trap 2
	ds_read_b64 v[14:15], v0
	s_andn2_b64 s[36:37], s[36:37], exec
	s_mov_b32 s48, 0
	s_waitcnt lgkmcnt(0)
	flat_load_dword v0, v[14:15] glc
	s_waitcnt vmcnt(0) lgkmcnt(0)
	buffer_wbinvl1_vol
	v_cmp_eq_u32_e32 vcc, 0, v0
	s_and_b64 vcc, vcc, exec
	s_or_b64 s[36:37], s[36:37], vcc
	s_mov_b64 vcc, -1
	s_or_b64 s[34:35], s[34:35], exec
	s_and_saveexec_b64 s[38:39], s[36:37]
	s_cbranch_execz .LBB2_377
.LBB2_381:                              ;   in Loop: Header=BB2_378 Depth=4
	s_sleep 1
	s_trap 2
	ds_read_b64 v[14:15], v0
	s_waitcnt lgkmcnt(0)
	s_andn2_b64 s[34:35], s[34:35], exec
	v_cmp_ge_u64_e32 vcc, v[14:15], v[12:13]
	s_orn2_b64 vcc, vcc, exec
	s_branch .LBB2_377
.LBB2_382:                              ;   in Loop: Header=BB2_274 Depth=3
	s_or_b64 exec, exec, s[94:95]
	s_and_saveexec_b64 s[94:95], s[30:31]
	s_xor_b64 s[94:95], exec, s[94:95]
	s_cbranch_execz .LBB2_384
; %bb.383:                              ;   in Loop: Header=BB2_274 Depth=3
	ds_write_b32 v0, v28
	s_trap 2
.LBB2_384:                              ;   in Loop: Header=BB2_274 Depth=3
	s_or_b64 exec, exec, s[92:93]
	;;#ASMSTART
	s_wakeup
	;;#ASMEND
.LBB2_385:                              ;   in Loop: Header=BB2_274 Depth=3
	s_or_b64 exec, exec, s[90:91]
.LBB2_386:                              ;   in Loop: Header=BB2_274 Depth=3
	s_andn2_saveexec_b64 s[88:89], s[88:89]
	s_cbranch_execz .LBB2_388
; %bb.387:                              ;   in Loop: Header=BB2_274 Depth=3
	s_waitcnt vmcnt(0) lgkmcnt(0)
	buffer_wbinvl1_vol
	s_barrier
.LBB2_388:                              ;   in Loop: Header=BB2_274 Depth=3
	s_or_b64 exec, exec, s[88:89]
.LBB2_389:                              ;   in Loop: Header=BB2_274 Depth=3
	s_or_b64 exec, exec, s[78:79]
	v_and_b32_e32 v0, 16, v60
	s_and_saveexec_b64 s[78:79], s[24:25]
	s_xor_b64 s[78:79], exec, s[78:79]
	s_cbranch_execz .LBB2_393
; %bb.390:                              ;   in Loop: Header=BB2_274 Depth=3
	v_and_b32_e32 v3, 16, v60
	v_cmp_ne_u32_e32 vcc, 0, v3
	v_and_b32_e32 v0, 16, v60
	s_and_b64 s[88:89], vcc, s[28:29]
	s_and_saveexec_b64 s[28:29], s[88:89]
	s_cbranch_execz .LBB2_392
; %bb.391:                              ;   in Loop: Header=BB2_274 Depth=3
	v_mov_b32_e32 v0, 1
	s_waitcnt vmcnt(0) lgkmcnt(0)
	buffer_wbinvl1_vol
.LBB2_392:                              ;   in Loop: Header=BB2_274 Depth=3
	s_or_b64 exec, exec, s[28:29]
.LBB2_393:                              ;   in Loop: Header=BB2_274 Depth=3
	s_andn2_saveexec_b64 s[28:29], s[78:79]
	s_cbranch_execz .LBB2_412
; %bb.394:                              ;   in Loop: Header=BB2_274 Depth=3
	s_and_saveexec_b64 s[78:79], s[56:57]
	s_xor_b64 s[78:79], exec, s[78:79]
	s_cbranch_execz .LBB2_409
; %bb.395:                              ;   in Loop: Header=BB2_274 Depth=3
	s_and_saveexec_b64 s[88:89], s[16:17]
	s_cbranch_execz .LBB2_408
; %bb.396:                              ;   in Loop: Header=BB2_274 Depth=3
	s_mov_b64 s[92:93], exec
	v_mbcnt_lo_u32_b32 v3, s92, 0
	v_mbcnt_hi_u32_b32 v3, s93, v3
	v_cmp_eq_u32_e32 vcc, 0, v3
	;;#ASMSTART
	s_waitcnt lgkmcnt(0) vmcnt(0)
	;;#ASMEND
	s_and_saveexec_b64 s[90:91], vcc
	s_cbranch_execz .LBB2_398
; %bb.397:                              ;   in Loop: Header=BB2_274 Depth=3
	s_bcnt1_i32_b64 s92, s[92:93]
	v_mov_b32_e32 v14, s92
	v_mov_b32_e32 v15, v2
	s_waitcnt lgkmcnt(0)
	ds_add_u64 v0, v[14:15]
	s_trap 2
.LBB2_398:                              ;   in Loop: Header=BB2_274 Depth=3
	s_or_b64 exec, exec, s[90:91]
	s_trap 2
	ds_read_b64 v[14:15], v0
	s_waitcnt lgkmcnt(0)
	v_add_co_u32_e32 v12, vcc, v12, v62
	v_addc_co_u32_e32 v13, vcc, 0, v13, vcc
	v_cmp_lt_u64_e32 vcc, v[14:15], v[12:13]
	s_and_saveexec_b64 s[90:91], vcc
	s_cbranch_execz .LBB2_407
; %bb.399:                              ;   in Loop: Header=BB2_274 Depth=3
	s_mov_b32 s38, 0
	s_mov_b64 s[92:93], 0
                                        ; implicit-def: $sgpr94_sgpr95
                                        ; implicit-def: $sgpr30_sgpr31
	s_branch .LBB2_401
.LBB2_400:                              ;   in Loop: Header=BB2_401 Depth=4
	s_or_b64 exec, exec, s[36:37]
	s_and_b64 vcc, exec, vcc
	s_or_b64 s[92:93], vcc, s[92:93]
	s_andn2_b64 s[94:95], s[94:95], exec
	s_and_b64 vcc, s[30:31], exec
	s_or_b64 s[94:95], s[94:95], vcc
	s_andn2_b64 exec, exec, s[92:93]
	s_cbranch_execz .LBB2_405
.LBB2_401:                              ;   Parent Loop BB2_47 Depth=1
                                        ;     Parent Loop BB2_271 Depth=2
                                        ;       Parent Loop BB2_274 Depth=3
                                        ; =>      This Inner Loop Header: Depth=4
	s_add_i32 s38, s38, 1
	s_cmpk_lg_i32 s38, 0x2710
	s_cselect_b64 s[34:35], -1, 0
	s_and_b64 vcc, exec, s[34:35]
	s_cbranch_vccz .LBB2_403
; %bb.402:                              ;   in Loop: Header=BB2_401 Depth=4
	s_mov_b64 vcc, -1
	s_or_b64 s[30:31], s[30:31], exec
	s_and_saveexec_b64 s[36:37], s[34:35]
	s_cbranch_execz .LBB2_400
	s_branch .LBB2_404
.LBB2_403:                              ;   in Loop: Header=BB2_401 Depth=4
	s_trap 2
	ds_read_b64 v[14:15], v0
	s_andn2_b64 s[34:35], s[34:35], exec
	s_mov_b32 s38, 0
	s_waitcnt vmcnt(0) lgkmcnt(0)
	flat_load_dword v3, v[14:15] glc
	s_waitcnt vmcnt(0) lgkmcnt(0)
	buffer_wbinvl1_vol
	v_cmp_eq_u32_e32 vcc, 0, v3
	s_and_b64 vcc, vcc, exec
	s_or_b64 s[34:35], s[34:35], vcc
	s_mov_b64 vcc, -1
	s_or_b64 s[30:31], s[30:31], exec
	s_and_saveexec_b64 s[36:37], s[34:35]
	s_cbranch_execz .LBB2_400
.LBB2_404:                              ;   in Loop: Header=BB2_401 Depth=4
	s_sleep 1
	s_trap 2
	ds_read_b64 v[14:15], v0
	s_waitcnt lgkmcnt(0)
	s_andn2_b64 s[30:31], s[30:31], exec
	v_cmp_ge_u64_e32 vcc, v[14:15], v[12:13]
	s_orn2_b64 vcc, vcc, exec
	s_branch .LBB2_400
.LBB2_405:                              ;   in Loop: Header=BB2_274 Depth=3
	s_or_b64 exec, exec, s[92:93]
	s_and_saveexec_b64 s[92:93], s[94:95]
	s_xor_b64 s[92:93], exec, s[92:93]
	s_cbranch_execz .LBB2_407
; %bb.406:                              ;   in Loop: Header=BB2_274 Depth=3
	ds_write_b32 v0, v28
	s_trap 2
.LBB2_407:                              ;   in Loop: Header=BB2_274 Depth=3
	s_or_b64 exec, exec, s[90:91]
	;;#ASMSTART
	s_wakeup
	;;#ASMEND
.LBB2_408:                              ;   in Loop: Header=BB2_274 Depth=3
	s_or_b64 exec, exec, s[88:89]
.LBB2_409:                              ;   in Loop: Header=BB2_274 Depth=3
	s_andn2_saveexec_b64 s[78:79], s[78:79]
	s_cbranch_execz .LBB2_411
; %bb.410:                              ;   in Loop: Header=BB2_274 Depth=3
	;;#ASMSTART
	s_waitcnt lgkmcnt(0) vmcnt(0)
	;;#ASMEND
	s_waitcnt vmcnt(0) lgkmcnt(0)
	s_barrier
.LBB2_411:                              ;   in Loop: Header=BB2_274 Depth=3
	s_or_b64 exec, exec, s[78:79]
.LBB2_412:                              ;   in Loop: Header=BB2_274 Depth=3
	s_or_b64 exec, exec, s[28:29]
	v_cmp_ne_u32_e32 vcc, 0, v0
	s_xor_b64 s[28:29], s[12:13], -1
	s_and_b64 s[78:79], vcc, s[28:29]
	s_and_saveexec_b64 s[28:29], s[78:79]
	s_cbranch_execz .LBB2_414
; %bb.413:                              ;   in Loop: Header=BB2_274 Depth=3
	s_waitcnt vmcnt(0)
	flat_store_dword v[24:25], v28
.LBB2_414:                              ;   in Loop: Header=BB2_274 Depth=3
	s_or_b64 exec, exec, s[28:29]
	v_and_b32_e32 v0, 48, v60
	v_cmp_ne_u32_e32 vcc, 0, v0
	s_and_saveexec_b64 s[28:29], vcc
	s_cbranch_execz .LBB2_273
; %bb.415:                              ;   in Loop: Header=BB2_274 Depth=3
	v_add_co_u32_e32 v38, vcc, 2, v38
	v_addc_co_u32_e32 v39, vcc, 0, v39, vcc
	flat_store_dwordx2 v[20:21], v[38:39]
	s_branch .LBB2_273
.LBB2_416:                              ;   in Loop: Header=BB2_271 Depth=2
	s_or_b64 exec, exec, s[42:43]
.LBB2_417:                              ;   in Loop: Header=BB2_271 Depth=2
	s_or_b64 exec, exec, s[40:41]
	v_cmp_gt_i32_e32 vcc, 2, v0
	s_and_saveexec_b64 s[40:41], vcc
	s_cbranch_execz .LBB2_270
; %bb.418:                              ;   in Loop: Header=BB2_271 Depth=2
	v_cmp_eq_u32_e64 s[76:77], 0, v0
	s_mov_b64 s[42:43], 0
	s_branch .LBB2_420
.LBB2_419:                              ;   in Loop: Header=BB2_420 Depth=3
	s_or_b64 exec, exec, s[28:29]
	v_add_u32_e32 v10, v8, v10
	s_mov_b64 s[76:77], 0
	s_andn2_b64 exec, exec, s[42:43]
	s_cbranch_execz .LBB2_269
.LBB2_420:                              ;   Parent Loop BB2_47 Depth=1
                                        ;     Parent Loop BB2_271 Depth=2
                                        ; =>    This Loop Header: Depth=3
                                        ;         Child Loop BB2_426 Depth 4
                                        ;         Child Loop BB2_454 Depth 4
	;; [unrolled: 1-line block ×3, first 2 shown]
	v_sub_u32_e32 v0, v56, v10
	v_min_i32_e32 v8, v8, v0
	v_and_b32_e32 v0, 12, v60
	v_cmp_ne_u32_e32 vcc, 0, v0
	s_and_saveexec_b64 s[78:79], vcc
	s_cbranch_execz .LBB2_446
; %bb.421:                              ;   in Loop: Header=BB2_420 Depth=3
	v_and_b32_e32 v3, 8, v60
	s_waitcnt vmcnt(0) lgkmcnt(0)
	v_add_co_u32_e32 v14, vcc, v26, v3
	v_addc_co_u32_e32 v15, vcc, 0, v27, vcc
	v_add_co_u32_e32 v52, vcc, 2, v38
	v_addc_co_u32_e32 v53, vcc, 0, v39, vcc
	v_cmp_lt_u64_e32 vcc, v[14:15], v[52:53]
	s_and_saveexec_b64 s[88:89], vcc
	s_cbranch_execz .LBB2_433
; %bb.422:                              ;   in Loop: Header=BB2_420 Depth=3
	v_and_b32_e32 v0, 64, v60
	s_mov_b32 s80, 0
	v_cmp_eq_u32_e32 vcc, 0, v0
	s_mov_b64 s[90:91], 0
                                        ; implicit-def: $sgpr92_sgpr93
                                        ; implicit-def: $sgpr94_sgpr95
                                        ; implicit-def: $sgpr30_sgpr31
	s_branch .LBB2_426
.LBB2_423:                              ;   in Loop: Header=BB2_426 Depth=4
	s_waitcnt vmcnt(0) lgkmcnt(0)
	v_add_co_u32_e64 v14, s[28:29], v26, v3
	v_addc_co_u32_e64 v15, s[28:29], 0, v27, s[28:29]
	v_cmp_ge_u64_e64 s[28:29], v[14:15], v[52:53]
	s_or_b64 s[38:39], s[38:39], exec
	s_orn2_b64 s[36:37], s[28:29], exec
.LBB2_424:                              ;   in Loop: Header=BB2_426 Depth=4
	s_or_b64 exec, exec, s[50:51]
	s_andn2_b64 s[28:29], s[30:31], exec
	s_and_b64 s[30:31], s[38:39], exec
	s_or_b64 s[30:31], s[28:29], s[30:31]
	s_andn2_b64 s[28:29], s[94:95], exec
	s_and_b64 s[94:95], s[36:37], exec
	s_or_b64 s[94:95], s[28:29], s[94:95]
.LBB2_425:                              ;   in Loop: Header=BB2_426 Depth=4
	s_or_b64 exec, exec, s[34:35]
	s_and_b64 s[28:29], exec, s[94:95]
	s_or_b64 s[90:91], s[28:29], s[90:91]
	s_andn2_b64 s[28:29], s[92:93], exec
	s_and_b64 s[92:93], s[30:31], exec
	s_or_b64 s[92:93], s[28:29], s[92:93]
	s_andn2_b64 exec, exec, s[90:91]
	s_cbranch_execz .LBB2_430
.LBB2_426:                              ;   Parent Loop BB2_47 Depth=1
                                        ;     Parent Loop BB2_271 Depth=2
                                        ;       Parent Loop BB2_420 Depth=3
                                        ; =>      This Inner Loop Header: Depth=4
	s_sleep 1
	s_waitcnt vmcnt(0) lgkmcnt(0)
	flat_load_dwordx2 v[26:27], v[20:21] glc
	s_or_b64 s[30:31], s[30:31], exec
	s_or_b64 s[94:95], s[94:95], exec
                                        ; implicit-def: $vgpr0
	s_and_saveexec_b64 s[34:35], vcc
	s_cbranch_execz .LBB2_425
; %bb.427:                              ;   in Loop: Header=BB2_426 Depth=4
	s_cmpk_lt_i32 s80, 0x270f
	s_cselect_b64 s[48:49], -1, 0
	s_cmpk_gt_i32 s80, 0x270e
	s_mov_b64 s[36:37], -1
	s_cbranch_scc0 .LBB2_429
; %bb.428:                              ;   in Loop: Header=BB2_426 Depth=4
	s_trap 2
	ds_read_b64 v[14:15], v0
	s_andn2_b64 s[48:49], s[48:49], exec
	s_mov_b32 s80, 0
	s_mov_b64 s[38:39], 0
	s_waitcnt vmcnt(0) lgkmcnt(0)
	flat_load_dword v0, v[14:15] glc
	s_waitcnt vmcnt(0) lgkmcnt(0)
	buffer_wbinvl1_vol
	v_cmp_eq_u32_e64 s[28:29], 0, v0
	s_and_b64 s[28:29], s[28:29], exec
	s_or_b64 s[48:49], s[48:49], s[28:29]
	s_and_saveexec_b64 s[50:51], s[48:49]
	s_cbranch_execz .LBB2_424
	s_branch .LBB2_423
.LBB2_429:                              ;   in Loop: Header=BB2_426 Depth=4
	s_add_i32 s80, s80, 1
	s_mov_b64 s[38:39], -1
                                        ; implicit-def: $vgpr0
	s_and_saveexec_b64 s[50:51], s[48:49]
	s_cbranch_execz .LBB2_424
	s_branch .LBB2_423
.LBB2_430:                              ;   in Loop: Header=BB2_420 Depth=3
	s_or_b64 exec, exec, s[90:91]
	s_xor_b64 s[28:29], s[92:93], -1
	s_and_saveexec_b64 s[90:91], s[28:29]
	s_xor_b64 s[28:29], exec, s[90:91]
	s_cbranch_execz .LBB2_432
; %bb.431:                              ;   in Loop: Header=BB2_420 Depth=3
	v_or_b32_e32 v60, 64, v60
	s_waitcnt lgkmcnt(0)
	ds_write_b32 v0, v0
	s_trap 2
.LBB2_432:                              ;   in Loop: Header=BB2_420 Depth=3
	s_or_b64 exec, exec, s[28:29]
.LBB2_433:                              ;   in Loop: Header=BB2_420 Depth=3
	s_or_b64 exec, exec, s[88:89]
	v_and_b32_e32 v0, 0x108, v60
	v_cmp_ne_u32_e32 vcc, s54, v0
	;;#ASMSTART
	s_wakeup
	;;#ASMEND
                                        ; implicit-def: $vgpr54_vgpr55
	s_and_saveexec_b64 s[28:29], vcc
	s_xor_b64 s[28:29], exec, s[28:29]
; %bb.434:                              ;   in Loop: Header=BB2_420 Depth=3
	v_and_b32_e32 v54, 7, v38
	v_mov_b32_e32 v55, v2
                                        ; implicit-def: $vgpr38_vgpr39
; %bb.435:                              ;   in Loop: Header=BB2_420 Depth=3
	s_andn2_saveexec_b64 s[28:29], s[28:29]
	s_cbranch_execz .LBB2_437
; %bb.436:                              ;   in Loop: Header=BB2_420 Depth=3
	v_and_b32_e32 v54, 7, v38
	v_mad_u64_u32 v[14:15], s[88:89], v54, 24, v[34:35]
	v_ashrrev_i32_e32 v9, 31, v8
	v_lshlrev_b64 v[16:17], 2, v[8:9]
	v_mov_b32_e32 v55, v2
	flat_store_dwordx2 v[14:15], v[16:17] offset:8
.LBB2_437:                              ;   in Loop: Header=BB2_420 Depth=3
	s_or_b64 exec, exec, s[28:29]
	v_and_b32_e32 v0, 0x100, v60
	v_cmp_ne_u32_e32 vcc, 0, v0
	s_mov_b64 s[28:29], -1
                                        ; implicit-def: $vgpr38_vgpr39
	s_and_saveexec_b64 s[88:89], vcc
	s_cbranch_execz .LBB2_441
; %bb.438:                              ;   in Loop: Header=BB2_420 Depth=3
	v_mad_u64_u32 v[40:41], s[28:29], v54, 24, v[34:35]
                                        ; implicit-def: $vgpr38_vgpr39
	v_mov_b32_e32 v0, v41
	v_mad_u64_u32 v[14:15], s[28:29], v55, 24, v[0:1]
	v_mov_b32_e32 v41, v14
	flat_load_dword v0, v[40:41]
	s_waitcnt vmcnt(0) lgkmcnt(0)
	v_cmp_ne_u32_e32 vcc, 1, v0
	v_cmp_eq_u32_e64 s[28:29], 1, v0
	s_and_saveexec_b64 s[90:91], s[28:29]
	s_cbranch_execz .LBB2_440
; %bb.439:                              ;   in Loop: Header=BB2_420 Depth=3
	flat_load_dword v14, v[40:41] offset:4 glc
	s_waitcnt vmcnt(0) lgkmcnt(0)
	v_ashrrev_i32_e32 v15, 31, v14
	v_lshrrev_b64 v[38:39], 2, v[14:15]
.LBB2_440:                              ;   in Loop: Header=BB2_420 Depth=3
	s_or_b64 exec, exec, s[90:91]
	s_orn2_b64 s[28:29], vcc, exec
.LBB2_441:                              ;   in Loop: Header=BB2_420 Depth=3
	s_or_b64 exec, exec, s[88:89]
	s_and_saveexec_b64 s[88:89], s[28:29]
	s_cbranch_execz .LBB2_443
; %bb.442:                              ;   in Loop: Header=BB2_420 Depth=3
	v_mul_lo_u32 v0, v55, v61
	v_mul_lo_u32 v9, v54, v57
	v_mad_u64_u32 v[38:39], s[28:29], v54, v61, 0
	v_add3_u32 v39, v39, v9, v0
.LBB2_443:                              ;   in Loop: Header=BB2_420 Depth=3
	s_or_b64 exec, exec, s[88:89]
	v_lshlrev_b64 v[14:15], 2, v[38:39]
	v_cmp_eq_u32_e32 vcc, 0, v3
	v_cndmask_b32_e32 v0, v51, v30, vcc
	v_add_co_u32_e32 v14, vcc, v6, v14
	v_addc_co_u32_e32 v15, vcc, v7, v15, vcc
	v_add_u32_e32 v0, v0, v0
	ds_write_b64 v0, v[14:15] offset:584
	v_and_b32_e32 v0, 0x2000, v60
	v_cmp_ne_u32_e32 vcc, 0, v0
	s_and_saveexec_b64 s[28:29], vcc
	s_cbranch_execz .LBB2_445
; %bb.444:                              ;   in Loop: Header=BB2_420 Depth=3
	ds_read_b64 v[14:15], v0 offset:872
	s_waitcnt lgkmcnt(0)
	v_add_co_u32_e32 v14, vcc, 1, v14
	v_addc_co_u32_e32 v15, vcc, 0, v15, vcc
	ds_write_b64 v0, v[14:15] offset:872
.LBB2_445:                              ;   in Loop: Header=BB2_420 Depth=3
	s_or_b64 exec, exec, s[28:29]
	v_mov_b32_e32 v38, v52
	v_mov_b32_e32 v39, v53
.LBB2_446:                              ;   in Loop: Header=BB2_420 Depth=3
	s_or_b64 exec, exec, s[78:79]
	s_xor_b64 s[28:29], s[76:77], -1
	s_and_b64 s[28:29], exec, s[28:29]
	s_or_b64 s[42:43], s[28:29], s[42:43]
	s_and_saveexec_b64 s[28:29], s[10:11]
	s_cbranch_execz .LBB2_465
; %bb.447:                              ;   in Loop: Header=BB2_420 Depth=3
	s_and_saveexec_b64 s[76:77], s[56:57]
	s_xor_b64 s[76:77], exec, s[76:77]
	s_cbranch_execz .LBB2_462
; %bb.448:                              ;   in Loop: Header=BB2_420 Depth=3
	s_and_saveexec_b64 s[78:79], s[16:17]
	s_cbranch_execz .LBB2_461
; %bb.449:                              ;   in Loop: Header=BB2_420 Depth=3
	s_mov_b64 s[90:91], exec
	v_mbcnt_lo_u32_b32 v0, s90, 0
	v_mbcnt_hi_u32_b32 v0, s91, v0
	v_cmp_eq_u32_e32 vcc, 0, v0
	s_waitcnt vmcnt(0) lgkmcnt(0)
	buffer_wbinvl1_vol
	s_and_saveexec_b64 s[88:89], vcc
	s_cbranch_execz .LBB2_451
; %bb.450:                              ;   in Loop: Header=BB2_420 Depth=3
	s_bcnt1_i32_b64 s90, s[90:91]
	v_mov_b32_e32 v14, s90
	v_mov_b32_e32 v15, v2
	ds_add_u64 v0, v[14:15]
	s_trap 2
.LBB2_451:                              ;   in Loop: Header=BB2_420 Depth=3
	s_or_b64 exec, exec, s[88:89]
	s_trap 2
	ds_read_b64 v[14:15], v0
	s_waitcnt lgkmcnt(0)
	v_add_co_u32_e32 v12, vcc, v12, v62
	v_addc_co_u32_e32 v13, vcc, 0, v13, vcc
	v_cmp_lt_u64_e32 vcc, v[14:15], v[12:13]
	s_and_saveexec_b64 s[88:89], vcc
	s_cbranch_execz .LBB2_460
; %bb.452:                              ;   in Loop: Header=BB2_420 Depth=3
	s_mov_b32 s36, 0
	s_mov_b64 s[90:91], 0
                                        ; implicit-def: $sgpr92_sgpr93
                                        ; implicit-def: $sgpr94_sgpr95
	s_branch .LBB2_454
.LBB2_453:                              ;   in Loop: Header=BB2_454 Depth=4
	s_or_b64 exec, exec, s[34:35]
	s_and_b64 vcc, exec, vcc
	s_or_b64 s[90:91], vcc, s[90:91]
	s_andn2_b64 s[92:93], s[92:93], exec
	s_and_b64 vcc, s[94:95], exec
	s_or_b64 s[92:93], s[92:93], vcc
	s_andn2_b64 exec, exec, s[90:91]
	s_cbranch_execz .LBB2_458
.LBB2_454:                              ;   Parent Loop BB2_47 Depth=1
                                        ;     Parent Loop BB2_271 Depth=2
                                        ;       Parent Loop BB2_420 Depth=3
                                        ; =>      This Inner Loop Header: Depth=4
	s_add_i32 s36, s36, 1
	s_cmpk_lg_i32 s36, 0x2710
	s_cselect_b64 s[30:31], -1, 0
	s_and_b64 vcc, exec, s[30:31]
	s_cbranch_vccz .LBB2_456
; %bb.455:                              ;   in Loop: Header=BB2_454 Depth=4
	s_mov_b64 vcc, -1
	s_or_b64 s[94:95], s[94:95], exec
	s_and_saveexec_b64 s[34:35], s[30:31]
	s_cbranch_execz .LBB2_453
	s_branch .LBB2_457
.LBB2_456:                              ;   in Loop: Header=BB2_454 Depth=4
	s_trap 2
	ds_read_b64 v[14:15], v0
	s_andn2_b64 s[30:31], s[30:31], exec
	s_mov_b32 s36, 0
	s_waitcnt lgkmcnt(0)
	flat_load_dword v0, v[14:15] glc
	s_waitcnt vmcnt(0) lgkmcnt(0)
	buffer_wbinvl1_vol
	v_cmp_eq_u32_e32 vcc, 0, v0
	s_and_b64 vcc, vcc, exec
	s_or_b64 s[30:31], s[30:31], vcc
	s_mov_b64 vcc, -1
	s_or_b64 s[94:95], s[94:95], exec
	s_and_saveexec_b64 s[34:35], s[30:31]
	s_cbranch_execz .LBB2_453
.LBB2_457:                              ;   in Loop: Header=BB2_454 Depth=4
	s_sleep 1
	s_trap 2
	ds_read_b64 v[14:15], v0
	s_waitcnt lgkmcnt(0)
	s_andn2_b64 s[94:95], s[94:95], exec
	v_cmp_ge_u64_e32 vcc, v[14:15], v[12:13]
	s_orn2_b64 vcc, vcc, exec
	s_branch .LBB2_453
.LBB2_458:                              ;   in Loop: Header=BB2_420 Depth=3
	s_or_b64 exec, exec, s[90:91]
	s_and_saveexec_b64 s[90:91], s[92:93]
	s_xor_b64 s[90:91], exec, s[90:91]
	s_cbranch_execz .LBB2_460
; %bb.459:                              ;   in Loop: Header=BB2_420 Depth=3
	ds_write_b32 v0, v28
	s_trap 2
.LBB2_460:                              ;   in Loop: Header=BB2_420 Depth=3
	s_or_b64 exec, exec, s[88:89]
	;;#ASMSTART
	s_wakeup
	;;#ASMEND
.LBB2_461:                              ;   in Loop: Header=BB2_420 Depth=3
	s_or_b64 exec, exec, s[78:79]
.LBB2_462:                              ;   in Loop: Header=BB2_420 Depth=3
	s_andn2_saveexec_b64 s[76:77], s[76:77]
	s_cbranch_execz .LBB2_464
; %bb.463:                              ;   in Loop: Header=BB2_420 Depth=3
	s_waitcnt vmcnt(0) lgkmcnt(0)
	buffer_wbinvl1_vol
	s_barrier
.LBB2_464:                              ;   in Loop: Header=BB2_420 Depth=3
	s_or_b64 exec, exec, s[76:77]
.LBB2_465:                              ;   in Loop: Header=BB2_420 Depth=3
	s_or_b64 exec, exec, s[28:29]
                                        ; implicit-def: $vgpr0
	s_and_saveexec_b64 s[28:29], s[62:63]
	s_xor_b64 s[28:29], exec, s[28:29]
	s_cbranch_execz .LBB2_477
; %bb.466:                              ;   in Loop: Header=BB2_420 Depth=3
	s_and_saveexec_b64 s[76:77], s[56:57]
	s_xor_b64 s[76:77], exec, s[76:77]
	s_cbranch_execz .LBB2_482
; %bb.467:                              ;   in Loop: Header=BB2_420 Depth=3
	s_and_saveexec_b64 s[78:79], s[16:17]
	s_cbranch_execz .LBB2_481
; %bb.468:                              ;   in Loop: Header=BB2_420 Depth=3
	s_mov_b64 s[90:91], exec
	v_mbcnt_lo_u32_b32 v0, s90, 0
	v_mbcnt_hi_u32_b32 v0, s91, v0
	v_cmp_eq_u32_e32 vcc, 0, v0
	;;#ASMSTART
	s_waitcnt lgkmcnt(0) vmcnt(0)
	;;#ASMEND
	s_and_saveexec_b64 s[88:89], vcc
	s_cbranch_execz .LBB2_470
; %bb.469:                              ;   in Loop: Header=BB2_420 Depth=3
	s_bcnt1_i32_b64 s90, s[90:91]
	v_mov_b32_e32 v14, s90
	v_mov_b32_e32 v15, v2
	s_waitcnt lgkmcnt(0)
	ds_add_u64 v0, v[14:15]
	s_trap 2
.LBB2_470:                              ;   in Loop: Header=BB2_420 Depth=3
	s_or_b64 exec, exec, s[88:89]
	s_trap 2
	ds_read_b64 v[14:15], v0
	s_waitcnt lgkmcnt(0)
	v_add_co_u32_e32 v12, vcc, v12, v62
	v_addc_co_u32_e32 v13, vcc, 0, v13, vcc
	v_cmp_lt_u64_e32 vcc, v[14:15], v[12:13]
	s_and_saveexec_b64 s[88:89], vcc
	s_cbranch_execz .LBB2_480
; %bb.471:                              ;   in Loop: Header=BB2_420 Depth=3
	s_mov_b32 s36, 0
	s_mov_b64 s[90:91], 0
                                        ; implicit-def: $sgpr92_sgpr93
                                        ; implicit-def: $sgpr94_sgpr95
	s_branch .LBB2_473
.LBB2_472:                              ;   in Loop: Header=BB2_473 Depth=4
	s_or_b64 exec, exec, s[34:35]
	s_and_b64 vcc, exec, vcc
	s_or_b64 s[90:91], vcc, s[90:91]
	s_andn2_b64 s[92:93], s[92:93], exec
	s_and_b64 vcc, s[94:95], exec
	s_or_b64 s[92:93], s[92:93], vcc
	s_andn2_b64 exec, exec, s[90:91]
	s_cbranch_execz .LBB2_478
.LBB2_473:                              ;   Parent Loop BB2_47 Depth=1
                                        ;     Parent Loop BB2_271 Depth=2
                                        ;       Parent Loop BB2_420 Depth=3
                                        ; =>      This Inner Loop Header: Depth=4
	s_add_i32 s36, s36, 1
	s_cmpk_lg_i32 s36, 0x2710
	s_cselect_b64 s[30:31], -1, 0
	s_and_b64 vcc, exec, s[30:31]
	s_cbranch_vccz .LBB2_475
; %bb.474:                              ;   in Loop: Header=BB2_473 Depth=4
	s_mov_b64 vcc, -1
	s_or_b64 s[94:95], s[94:95], exec
	s_and_saveexec_b64 s[34:35], s[30:31]
	s_cbranch_execz .LBB2_472
	s_branch .LBB2_476
.LBB2_475:                              ;   in Loop: Header=BB2_473 Depth=4
	s_trap 2
	ds_read_b64 v[14:15], v0
	s_andn2_b64 s[30:31], s[30:31], exec
	s_mov_b32 s36, 0
	s_waitcnt vmcnt(0) lgkmcnt(0)
	flat_load_dword v0, v[14:15] glc
	s_waitcnt vmcnt(0) lgkmcnt(0)
	buffer_wbinvl1_vol
	v_cmp_eq_u32_e32 vcc, 0, v0
	s_and_b64 vcc, vcc, exec
	s_or_b64 s[30:31], s[30:31], vcc
	s_mov_b64 vcc, -1
	s_or_b64 s[94:95], s[94:95], exec
	s_and_saveexec_b64 s[34:35], s[30:31]
	s_cbranch_execz .LBB2_472
.LBB2_476:                              ;   in Loop: Header=BB2_473 Depth=4
	s_sleep 1
	s_trap 2
	ds_read_b64 v[14:15], v0
	s_waitcnt lgkmcnt(0)
	s_andn2_b64 s[94:95], s[94:95], exec
	v_cmp_ge_u64_e32 vcc, v[14:15], v[12:13]
	s_orn2_b64 vcc, vcc, exec
	s_branch .LBB2_472
.LBB2_477:                              ;   in Loop: Header=BB2_420 Depth=3
	s_andn2_saveexec_b64 s[28:29], s[28:29]
	s_cbranch_execnz .LBB2_485
	s_branch .LBB2_488
.LBB2_478:                              ;   in Loop: Header=BB2_420 Depth=3
	s_or_b64 exec, exec, s[90:91]
	s_and_saveexec_b64 s[90:91], s[92:93]
	s_xor_b64 s[90:91], exec, s[90:91]
	s_cbranch_execz .LBB2_480
; %bb.479:                              ;   in Loop: Header=BB2_420 Depth=3
	ds_write_b32 v0, v28
	s_trap 2
.LBB2_480:                              ;   in Loop: Header=BB2_420 Depth=3
	s_or_b64 exec, exec, s[88:89]
	;;#ASMSTART
	s_wakeup
	;;#ASMEND
.LBB2_481:                              ;   in Loop: Header=BB2_420 Depth=3
	s_or_b64 exec, exec, s[78:79]
.LBB2_482:                              ;   in Loop: Header=BB2_420 Depth=3
	s_andn2_saveexec_b64 s[76:77], s[76:77]
	s_cbranch_execz .LBB2_484
; %bb.483:                              ;   in Loop: Header=BB2_420 Depth=3
	;;#ASMSTART
	s_waitcnt lgkmcnt(0) vmcnt(0)
	;;#ASMEND
	s_waitcnt vmcnt(0) lgkmcnt(0)
	s_barrier
.LBB2_484:                              ;   in Loop: Header=BB2_420 Depth=3
	s_or_b64 exec, exec, s[76:77]
	v_and_b32_e32 v0, 16, v60
	s_andn2_saveexec_b64 s[28:29], s[28:29]
	s_cbranch_execz .LBB2_488
.LBB2_485:                              ;   in Loop: Header=BB2_420 Depth=3
	s_trap 2
	ds_read_b32 v0, v0
	v_cmp_lt_i32_e32 vcc, 0, v8
	v_and_b32_e32 v3, 16, v60
	s_waitcnt lgkmcnt(0)
	v_readfirstlane_b32 s76, v0
	s_cmp_eq_u32 s76, 0
	s_cselect_b64 s[76:77], -1, 0
	s_and_b64 s[76:77], vcc, s[76:77]
	v_cmp_ne_u32_e32 vcc, 0, v3
	v_and_b32_e32 v0, 16, v60
	s_and_b64 s[78:79], vcc, s[76:77]
	s_and_saveexec_b64 s[76:77], s[78:79]
	s_cbranch_execz .LBB2_487
; %bb.486:                              ;   in Loop: Header=BB2_420 Depth=3
	v_mov_b32_e32 v0, 1
	s_waitcnt vmcnt(0)
	buffer_wbinvl1_vol
.LBB2_487:                              ;   in Loop: Header=BB2_420 Depth=3
	s_or_b64 exec, exec, s[76:77]
.LBB2_488:                              ;   in Loop: Header=BB2_420 Depth=3
	s_or_b64 exec, exec, s[28:29]
	v_cmp_ne_u32_e32 vcc, 0, v0
	s_xor_b64 s[28:29], s[12:13], -1
	s_and_b64 s[76:77], vcc, s[28:29]
	s_and_saveexec_b64 s[28:29], s[76:77]
	s_cbranch_execz .LBB2_490
; %bb.489:                              ;   in Loop: Header=BB2_420 Depth=3
	s_waitcnt vmcnt(0)
	flat_store_dword v[24:25], v28
.LBB2_490:                              ;   in Loop: Header=BB2_420 Depth=3
	s_or_b64 exec, exec, s[28:29]
	v_and_b32_e32 v0, 48, v60
	v_cmp_ne_u32_e32 vcc, 0, v0
	s_and_saveexec_b64 s[28:29], vcc
	s_cbranch_execz .LBB2_419
; %bb.491:                              ;   in Loop: Header=BB2_420 Depth=3
	v_add_co_u32_e32 v38, vcc, 2, v38
	v_addc_co_u32_e32 v39, vcc, 0, v39, vcc
	flat_store_dwordx2 v[20:21], v[38:39]
	s_branch .LBB2_419
.LBB2_492:                              ;   in Loop: Header=BB2_47 Depth=1
	buffer_load_dword v14, off, s[0:3], s33 offset:116 ; 4-byte Folded Reload
	buffer_load_dword v15, off, s[0:3], s33 offset:120 ; 4-byte Folded Reload
	;; [unrolled: 1-line block ×4, first 2 shown]
	v_mov_b32_e32 v54, 0
	s_waitcnt vmcnt(0)
	v_mul_lo_u32 v3, v14, s53
	v_mul_lo_u32 v0, v15, s52
	v_mad_u64_u32 v[8:9], s[28:29], v14, s52, 0
	v_sub_co_u32_e32 v10, vcc, v10, v8
	v_add3_u32 v9, v9, v3, v0
	v_subb_co_u32_e32 v11, vcc, v11, v9, vcc
	v_cmp_lt_i64_e32 vcc, v[14:15], v[10:11]
	v_mov_b32_e32 v0, 0
	v_cndmask_b32_e32 v10, v10, v14, vcc
	v_max_i32_e32 v3, 0, v10
	v_add_u32_e32 v11, 31, v3
	v_lshrrev_b32_e32 v11, 1, v11
	v_and_b32_e32 v11, 0x3ffffff0, v11
	v_cmp_lt_i32_e32 vcc, 0, v10
	v_max_i32_e32 v52, s68, v11
	s_and_b64 s[28:29], s[72:73], vcc
	s_and_saveexec_b64 s[76:77], s[28:29]
	s_cbranch_execz .LBB2_674
; %bb.493:                              ;   in Loop: Header=BB2_47 Depth=1
	v_add_co_u32_e32 v8, vcc, v8, v22
	v_addc_co_u32_e32 v9, vcc, v9, v23, vcc
	v_lshlrev_b64 v[40:41], 2, v[8:9]
	s_mov_b32 s75, 1
	s_mov_b64 s[88:89], -1
	v_mov_b32_e32 v54, 0
	s_mov_b64 s[78:79], 0
	s_branch .LBB2_495
.LBB2_494:                              ;   in Loop: Header=BB2_495 Depth=2
	s_or_b64 exec, exec, s[28:29]
	v_add_u32_e32 v54, v52, v54
	v_cmp_ge_i32_e32 vcc, v54, v3
	s_xor_b64 s[28:29], s[88:89], -1
	s_or_b64 s[28:29], s[28:29], vcc
	s_and_b64 s[28:29], exec, s[28:29]
	s_or_b64 s[78:79], s[28:29], s[78:79]
	s_mov_b64 s[88:89], 0
	v_mov_b32_e32 v0, s75
	s_mov_b32 s75, 2
	s_andn2_b64 exec, exec, s[78:79]
	s_cbranch_execz .LBB2_749
.LBB2_495:                              ;   Parent Loop BB2_47 Depth=1
                                        ; =>  This Loop Header: Depth=2
                                        ;       Child Loop BB2_503 Depth 3
                                        ;       Child Loop BB2_531 Depth 3
	;; [unrolled: 1-line block ×4, first 2 shown]
                                        ;         Child Loop BB2_574 Depth 4
                                        ;       Child Loop BB2_580 Depth 3
                                        ;         Child Loop BB2_581 Depth 4
                                        ;       Child Loop BB2_590 Depth 3
                                        ;       Child Loop BB2_595 Depth 3
                                        ;         Child Loop BB2_596 Depth 4
                                        ;       Child Loop BB2_608 Depth 3
                                        ;       Child Loop BB2_613 Depth 3
	;; [unrolled: 1-line block ×6, first 2 shown]
	s_and_saveexec_b64 s[28:29], s[4:5]
	s_cbranch_execz .LBB2_497
; %bb.496:                              ;   in Loop: Header=BB2_495 Depth=2
	s_trap 2
	s_waitcnt vmcnt(0)
	ds_read2_b64 v[8:11], v0 offset1:1
	v_ashrrev_i32_e32 v55, 31, v54
	s_waitcnt lgkmcnt(0)
	v_add_co_u32_e32 v0, vcc, v8, v40
	v_addc_co_u32_e32 v15, vcc, v9, v41, vcc
	v_lshlrev_b64 v[8:9], 2, v[54:55]
	v_add_co_u32_e32 v14, vcc, v0, v8
	v_addc_co_u32_e32 v15, vcc, v15, v9, vcc
	ds_write_b64 v0, v[14:15]
	v_add_co_u32_e32 v0, vcc, v10, v40
	v_addc_co_u32_e32 v11, vcc, v11, v41, vcc
	v_add_co_u32_e32 v10, vcc, v0, v8
	v_addc_co_u32_e32 v11, vcc, v11, v9, vcc
	ds_write_b64 v0, v[10:11]
	ds_read_b64 v[10:11], v0
	s_waitcnt lgkmcnt(0)
	v_add_co_u32_e32 v0, vcc, v10, v40
	v_addc_co_u32_e32 v14, vcc, v11, v41, vcc
	v_add_co_u32_e32 v0, vcc, v0, v8
	v_addc_co_u32_e32 v8, vcc, v14, v9, vcc
	v_cmp_ne_u64_e32 vcc, 0, v[10:11]
	v_cndmask_b32_e32 v9, 0, v8, vcc
	v_cndmask_b32_e32 v8, 0, v0, vcc
	ds_write_b64 v0, v[8:9]
.LBB2_497:                              ;   in Loop: Header=BB2_495 Depth=2
	s_or_b64 exec, exec, s[28:29]
	v_sub_u32_e32 v0, v3, v54
	v_min_i32_e32 v52, v52, v0
	v_and_b32_e32 v0, 12, v60
	v_cmp_ne_u32_e32 vcc, 0, v0
	s_and_saveexec_b64 s[40:41], vcc
	s_cbranch_execz .LBB2_523
; %bb.498:                              ;   in Loop: Header=BB2_495 Depth=2
	v_and_b32_e32 v48, 8, v60
	s_waitcnt vmcnt(0) lgkmcnt(0)
	v_add_co_u32_e32 v10, vcc, v26, v48
	v_addc_co_u32_e32 v11, vcc, 0, v27, vcc
	v_add_co_u32_e32 v8, vcc, 2, v38
	v_addc_co_u32_e32 v9, vcc, 0, v39, vcc
	v_cmp_lt_u64_e32 vcc, v[10:11], v[8:9]
	s_and_saveexec_b64 s[42:43], vcc
	s_cbranch_execz .LBB2_510
; %bb.499:                              ;   in Loop: Header=BB2_495 Depth=2
	v_and_b32_e32 v0, 64, v60
	s_mov_b32 s80, 0
	v_cmp_eq_u32_e32 vcc, 0, v0
	s_mov_b64 s[90:91], 0
                                        ; implicit-def: $sgpr92_sgpr93
                                        ; implicit-def: $sgpr94_sgpr95
                                        ; implicit-def: $sgpr30_sgpr31
	s_branch .LBB2_503
.LBB2_500:                              ;   in Loop: Header=BB2_503 Depth=3
	s_waitcnt vmcnt(0) lgkmcnt(0)
	v_add_co_u32_e64 v10, s[28:29], v26, v48
	v_addc_co_u32_e64 v11, s[28:29], 0, v27, s[28:29]
	v_cmp_ge_u64_e64 s[28:29], v[10:11], v[8:9]
	s_or_b64 s[38:39], s[38:39], exec
	s_orn2_b64 s[36:37], s[28:29], exec
.LBB2_501:                              ;   in Loop: Header=BB2_503 Depth=3
	s_or_b64 exec, exec, s[50:51]
	s_andn2_b64 s[28:29], s[30:31], exec
	s_and_b64 s[30:31], s[38:39], exec
	s_or_b64 s[30:31], s[28:29], s[30:31]
	s_andn2_b64 s[28:29], s[94:95], exec
	s_and_b64 s[94:95], s[36:37], exec
	s_or_b64 s[94:95], s[28:29], s[94:95]
.LBB2_502:                              ;   in Loop: Header=BB2_503 Depth=3
	s_or_b64 exec, exec, s[34:35]
	s_and_b64 s[28:29], exec, s[94:95]
	s_or_b64 s[90:91], s[28:29], s[90:91]
	s_andn2_b64 s[28:29], s[92:93], exec
	s_and_b64 s[92:93], s[30:31], exec
	s_or_b64 s[92:93], s[28:29], s[92:93]
	s_andn2_b64 exec, exec, s[90:91]
	s_cbranch_execz .LBB2_507
.LBB2_503:                              ;   Parent Loop BB2_47 Depth=1
                                        ;     Parent Loop BB2_495 Depth=2
                                        ; =>    This Inner Loop Header: Depth=3
	s_sleep 1
	s_waitcnt vmcnt(0) lgkmcnt(0)
	flat_load_dwordx2 v[26:27], v[20:21] glc
	s_or_b64 s[30:31], s[30:31], exec
	s_or_b64 s[94:95], s[94:95], exec
                                        ; implicit-def: $vgpr0
	s_and_saveexec_b64 s[34:35], vcc
	s_cbranch_execz .LBB2_502
; %bb.504:                              ;   in Loop: Header=BB2_503 Depth=3
	s_cmpk_lt_i32 s80, 0x270f
	s_cselect_b64 s[48:49], -1, 0
	s_cmpk_gt_i32 s80, 0x270e
	s_mov_b64 s[36:37], -1
	s_cbranch_scc0 .LBB2_506
; %bb.505:                              ;   in Loop: Header=BB2_503 Depth=3
	s_trap 2
	ds_read_b64 v[10:11], v0
	s_andn2_b64 s[48:49], s[48:49], exec
	s_mov_b32 s80, 0
	s_mov_b64 s[38:39], 0
	s_waitcnt vmcnt(0) lgkmcnt(0)
	flat_load_dword v0, v[10:11] glc
	s_waitcnt vmcnt(0) lgkmcnt(0)
	buffer_wbinvl1_vol
	v_cmp_eq_u32_e64 s[28:29], 0, v0
	s_and_b64 s[28:29], s[28:29], exec
	s_or_b64 s[48:49], s[48:49], s[28:29]
	s_and_saveexec_b64 s[50:51], s[48:49]
	s_cbranch_execz .LBB2_501
	s_branch .LBB2_500
.LBB2_506:                              ;   in Loop: Header=BB2_503 Depth=3
	s_add_i32 s80, s80, 1
	s_mov_b64 s[38:39], -1
                                        ; implicit-def: $vgpr0
	s_and_saveexec_b64 s[50:51], s[48:49]
	s_cbranch_execz .LBB2_501
	s_branch .LBB2_500
.LBB2_507:                              ;   in Loop: Header=BB2_495 Depth=2
	s_or_b64 exec, exec, s[90:91]
	s_xor_b64 s[28:29], s[92:93], -1
	s_and_saveexec_b64 s[90:91], s[28:29]
	s_xor_b64 s[28:29], exec, s[90:91]
	s_cbranch_execz .LBB2_509
; %bb.508:                              ;   in Loop: Header=BB2_495 Depth=2
	v_or_b32_e32 v60, 64, v60
	s_waitcnt lgkmcnt(0)
	ds_write_b32 v0, v0
	s_trap 2
.LBB2_509:                              ;   in Loop: Header=BB2_495 Depth=2
	s_or_b64 exec, exec, s[28:29]
.LBB2_510:                              ;   in Loop: Header=BB2_495 Depth=2
	s_or_b64 exec, exec, s[42:43]
	v_and_b32_e32 v0, 0x108, v60
	v_cmp_ne_u32_e32 vcc, s54, v0
	;;#ASMSTART
	s_wakeup
	;;#ASMEND
                                        ; implicit-def: $vgpr10_vgpr11
	s_and_saveexec_b64 s[28:29], vcc
	s_xor_b64 s[28:29], exec, s[28:29]
; %bb.511:                              ;   in Loop: Header=BB2_495 Depth=2
	v_and_b32_e32 v10, 7, v38
	v_mov_b32_e32 v11, v2
                                        ; implicit-def: $vgpr38_vgpr39
; %bb.512:                              ;   in Loop: Header=BB2_495 Depth=2
	s_andn2_saveexec_b64 s[28:29], s[28:29]
	s_cbranch_execz .LBB2_514
; %bb.513:                              ;   in Loop: Header=BB2_495 Depth=2
	v_and_b32_e32 v10, 7, v38
	v_mad_u64_u32 v[14:15], s[42:43], v10, 24, v[34:35]
	v_ashrrev_i32_e32 v53, 31, v52
	v_lshlrev_b64 v[16:17], 2, v[52:53]
	v_mov_b32_e32 v11, v2
	flat_store_dwordx2 v[14:15], v[16:17] offset:8
.LBB2_514:                              ;   in Loop: Header=BB2_495 Depth=2
	s_or_b64 exec, exec, s[28:29]
	v_and_b32_e32 v0, 0x100, v60
	v_cmp_ne_u32_e32 vcc, 0, v0
	s_mov_b64 s[28:29], -1
                                        ; implicit-def: $vgpr38_vgpr39
	s_and_saveexec_b64 s[42:43], vcc
	s_cbranch_execz .LBB2_518
; %bb.515:                              ;   in Loop: Header=BB2_495 Depth=2
	v_mad_u64_u32 v[42:43], s[28:29], v10, 24, v[34:35]
                                        ; implicit-def: $vgpr38_vgpr39
	v_mov_b32_e32 v0, v43
	v_mad_u64_u32 v[14:15], s[28:29], v11, 24, v[0:1]
	v_mov_b32_e32 v43, v14
	flat_load_dword v0, v[42:43]
	s_waitcnt vmcnt(0) lgkmcnt(0)
	v_cmp_ne_u32_e32 vcc, 1, v0
	v_cmp_eq_u32_e64 s[28:29], 1, v0
	s_and_saveexec_b64 s[90:91], s[28:29]
	s_cbranch_execz .LBB2_517
; %bb.516:                              ;   in Loop: Header=BB2_495 Depth=2
	flat_load_dword v14, v[42:43] offset:4 glc
	s_waitcnt vmcnt(0) lgkmcnt(0)
	v_ashrrev_i32_e32 v15, 31, v14
	v_lshrrev_b64 v[38:39], 2, v[14:15]
.LBB2_517:                              ;   in Loop: Header=BB2_495 Depth=2
	s_or_b64 exec, exec, s[90:91]
	s_orn2_b64 s[28:29], vcc, exec
.LBB2_518:                              ;   in Loop: Header=BB2_495 Depth=2
	s_or_b64 exec, exec, s[42:43]
	s_and_saveexec_b64 s[42:43], s[28:29]
	s_cbranch_execz .LBB2_520
; %bb.519:                              ;   in Loop: Header=BB2_495 Depth=2
	v_mul_lo_u32 v0, v11, v61
	v_mul_lo_u32 v11, v10, v57
	v_mad_u64_u32 v[38:39], s[28:29], v10, v61, 0
	v_add3_u32 v39, v39, v11, v0
.LBB2_520:                              ;   in Loop: Header=BB2_495 Depth=2
	s_or_b64 exec, exec, s[42:43]
	v_lshlrev_b64 v[10:11], 2, v[38:39]
	v_cmp_eq_u32_e32 vcc, 0, v48
	v_cndmask_b32_e32 v0, v56, v30, vcc
	v_add_co_u32_e32 v10, vcc, v6, v10
	v_addc_co_u32_e32 v11, vcc, v7, v11, vcc
	v_add_u32_e32 v0, v0, v0
	ds_write_b64 v0, v[10:11] offset:584
	v_and_b32_e32 v0, 0x2000, v60
	v_cmp_ne_u32_e32 vcc, 0, v0
	s_and_saveexec_b64 s[28:29], vcc
	s_cbranch_execz .LBB2_522
; %bb.521:                              ;   in Loop: Header=BB2_495 Depth=2
	ds_read_b64 v[10:11], v0 offset:872
	s_waitcnt lgkmcnt(0)
	v_add_co_u32_e32 v10, vcc, 1, v10
	v_addc_co_u32_e32 v11, vcc, 0, v11, vcc
	ds_write_b64 v0, v[10:11] offset:872
.LBB2_522:                              ;   in Loop: Header=BB2_495 Depth=2
	s_or_b64 exec, exec, s[28:29]
	v_mov_b32_e32 v39, v9
	v_mov_b32_e32 v38, v8
.LBB2_523:                              ;   in Loop: Header=BB2_495 Depth=2
	s_or_b64 exec, exec, s[40:41]
	s_and_saveexec_b64 s[28:29], s[10:11]
	s_cbranch_execz .LBB2_542
; %bb.524:                              ;   in Loop: Header=BB2_495 Depth=2
	s_and_saveexec_b64 s[40:41], s[56:57]
	s_xor_b64 s[40:41], exec, s[40:41]
	s_cbranch_execz .LBB2_539
; %bb.525:                              ;   in Loop: Header=BB2_495 Depth=2
	s_and_saveexec_b64 s[42:43], s[16:17]
	s_cbranch_execz .LBB2_538
; %bb.526:                              ;   in Loop: Header=BB2_495 Depth=2
	s_mov_b64 s[92:93], exec
	v_mbcnt_lo_u32_b32 v0, s92, 0
	v_mbcnt_hi_u32_b32 v0, s93, v0
	v_cmp_eq_u32_e32 vcc, 0, v0
	s_waitcnt vmcnt(0) lgkmcnt(0)
	buffer_wbinvl1_vol
	s_and_saveexec_b64 s[90:91], vcc
	s_cbranch_execz .LBB2_528
; %bb.527:                              ;   in Loop: Header=BB2_495 Depth=2
	s_bcnt1_i32_b64 s92, s[92:93]
	v_mov_b32_e32 v8, s92
	v_mov_b32_e32 v9, v2
	ds_add_u64 v0, v[8:9]
	s_trap 2
.LBB2_528:                              ;   in Loop: Header=BB2_495 Depth=2
	s_or_b64 exec, exec, s[90:91]
	s_trap 2
	ds_read_b64 v[8:9], v0
	s_waitcnt lgkmcnt(0)
	v_add_co_u32_e32 v12, vcc, v12, v62
	v_addc_co_u32_e32 v13, vcc, 0, v13, vcc
	v_cmp_lt_u64_e32 vcc, v[8:9], v[12:13]
	s_and_saveexec_b64 s[90:91], vcc
	s_cbranch_execz .LBB2_537
; %bb.529:                              ;   in Loop: Header=BB2_495 Depth=2
	s_mov_b32 s38, 0
	s_mov_b64 s[92:93], 0
                                        ; implicit-def: $sgpr94_sgpr95
                                        ; implicit-def: $sgpr30_sgpr31
	s_branch .LBB2_531
.LBB2_530:                              ;   in Loop: Header=BB2_531 Depth=3
	s_or_b64 exec, exec, s[36:37]
	s_and_b64 vcc, exec, vcc
	s_or_b64 s[92:93], vcc, s[92:93]
	s_andn2_b64 s[94:95], s[94:95], exec
	s_and_b64 vcc, s[30:31], exec
	s_or_b64 s[94:95], s[94:95], vcc
	s_andn2_b64 exec, exec, s[92:93]
	s_cbranch_execz .LBB2_535
.LBB2_531:                              ;   Parent Loop BB2_47 Depth=1
                                        ;     Parent Loop BB2_495 Depth=2
                                        ; =>    This Inner Loop Header: Depth=3
	s_add_i32 s38, s38, 1
	s_cmpk_lg_i32 s38, 0x2710
	s_cselect_b64 s[34:35], -1, 0
	s_and_b64 vcc, exec, s[34:35]
	s_cbranch_vccz .LBB2_533
; %bb.532:                              ;   in Loop: Header=BB2_531 Depth=3
	s_mov_b64 vcc, -1
	s_or_b64 s[30:31], s[30:31], exec
	s_and_saveexec_b64 s[36:37], s[34:35]
	s_cbranch_execz .LBB2_530
	s_branch .LBB2_534
.LBB2_533:                              ;   in Loop: Header=BB2_531 Depth=3
	s_trap 2
	ds_read_b64 v[8:9], v0
	s_andn2_b64 s[34:35], s[34:35], exec
	s_mov_b32 s38, 0
	s_waitcnt lgkmcnt(0)
	flat_load_dword v0, v[8:9] glc
	s_waitcnt vmcnt(0) lgkmcnt(0)
	buffer_wbinvl1_vol
	v_cmp_eq_u32_e32 vcc, 0, v0
	s_and_b64 vcc, vcc, exec
	s_or_b64 s[34:35], s[34:35], vcc
	s_mov_b64 vcc, -1
	s_or_b64 s[30:31], s[30:31], exec
	s_and_saveexec_b64 s[36:37], s[34:35]
	s_cbranch_execz .LBB2_530
.LBB2_534:                              ;   in Loop: Header=BB2_531 Depth=3
	s_sleep 1
	s_trap 2
	ds_read_b64 v[8:9], v0
	s_waitcnt lgkmcnt(0)
	s_andn2_b64 s[30:31], s[30:31], exec
	v_cmp_ge_u64_e32 vcc, v[8:9], v[12:13]
	s_orn2_b64 vcc, vcc, exec
	s_branch .LBB2_530
.LBB2_535:                              ;   in Loop: Header=BB2_495 Depth=2
	s_or_b64 exec, exec, s[92:93]
	s_and_saveexec_b64 s[92:93], s[94:95]
	s_xor_b64 s[92:93], exec, s[92:93]
	s_cbranch_execz .LBB2_537
; %bb.536:                              ;   in Loop: Header=BB2_495 Depth=2
	ds_write_b32 v0, v28
	s_trap 2
.LBB2_537:                              ;   in Loop: Header=BB2_495 Depth=2
	s_or_b64 exec, exec, s[90:91]
	;;#ASMSTART
	s_wakeup
	;;#ASMEND
.LBB2_538:                              ;   in Loop: Header=BB2_495 Depth=2
	s_or_b64 exec, exec, s[42:43]
.LBB2_539:                              ;   in Loop: Header=BB2_495 Depth=2
	s_andn2_saveexec_b64 s[40:41], s[40:41]
	s_cbranch_execz .LBB2_541
; %bb.540:                              ;   in Loop: Header=BB2_495 Depth=2
	s_waitcnt vmcnt(0) lgkmcnt(0)
	buffer_wbinvl1_vol
	s_barrier
.LBB2_541:                              ;   in Loop: Header=BB2_495 Depth=2
	s_or_b64 exec, exec, s[40:41]
.LBB2_542:                              ;   in Loop: Header=BB2_495 Depth=2
	s_or_b64 exec, exec, s[28:29]
	s_trap 2
	ds_read_b32 v0, v0
	s_waitcnt vmcnt(0)
	v_and_b32_e32 v8, 0x4000, v60
	v_cmp_ne_u32_e32 vcc, 0, v8
	s_xor_b64 s[28:29], s[6:7], -1
	s_and_b64 s[40:41], s[28:29], vcc
	s_and_saveexec_b64 s[28:29], s[40:41]
	s_cbranch_execz .LBB2_561
; %bb.543:                              ;   in Loop: Header=BB2_495 Depth=2
	s_and_saveexec_b64 s[40:41], s[56:57]
	s_xor_b64 s[40:41], exec, s[40:41]
	s_cbranch_execz .LBB2_558
; %bb.544:                              ;   in Loop: Header=BB2_495 Depth=2
	s_and_saveexec_b64 s[42:43], s[16:17]
	s_cbranch_execz .LBB2_557
; %bb.545:                              ;   in Loop: Header=BB2_495 Depth=2
	s_mov_b64 s[92:93], exec
	v_mbcnt_lo_u32_b32 v8, s92, 0
	v_mbcnt_hi_u32_b32 v8, s93, v8
	v_cmp_eq_u32_e32 vcc, 0, v8
	s_waitcnt vmcnt(0) lgkmcnt(0)
	buffer_wbinvl1_vol
	s_and_saveexec_b64 s[90:91], vcc
	s_cbranch_execz .LBB2_547
; %bb.546:                              ;   in Loop: Header=BB2_495 Depth=2
	s_bcnt1_i32_b64 s92, s[92:93]
	v_mov_b32_e32 v8, s92
	v_mov_b32_e32 v9, v2
	ds_add_u64 v0, v[8:9]
	s_trap 2
.LBB2_547:                              ;   in Loop: Header=BB2_495 Depth=2
	s_or_b64 exec, exec, s[90:91]
	s_trap 2
	ds_read_b64 v[8:9], v0
	s_waitcnt lgkmcnt(0)
	v_add_co_u32_e32 v12, vcc, v12, v62
	v_addc_co_u32_e32 v13, vcc, 0, v13, vcc
	v_cmp_lt_u64_e32 vcc, v[8:9], v[12:13]
	s_and_saveexec_b64 s[90:91], vcc
	s_cbranch_execz .LBB2_556
; %bb.548:                              ;   in Loop: Header=BB2_495 Depth=2
	s_mov_b32 s38, 0
	s_mov_b64 s[92:93], 0
                                        ; implicit-def: $sgpr94_sgpr95
                                        ; implicit-def: $sgpr30_sgpr31
	s_branch .LBB2_550
.LBB2_549:                              ;   in Loop: Header=BB2_550 Depth=3
	s_or_b64 exec, exec, s[36:37]
	s_and_b64 vcc, exec, vcc
	s_or_b64 s[92:93], vcc, s[92:93]
	s_andn2_b64 s[94:95], s[94:95], exec
	s_and_b64 vcc, s[30:31], exec
	s_or_b64 s[94:95], s[94:95], vcc
	s_andn2_b64 exec, exec, s[92:93]
	s_cbranch_execz .LBB2_554
.LBB2_550:                              ;   Parent Loop BB2_47 Depth=1
                                        ;     Parent Loop BB2_495 Depth=2
                                        ; =>    This Inner Loop Header: Depth=3
	s_add_i32 s38, s38, 1
	s_cmpk_lg_i32 s38, 0x2710
	s_cselect_b64 s[34:35], -1, 0
	s_and_b64 vcc, exec, s[34:35]
	s_cbranch_vccz .LBB2_552
; %bb.551:                              ;   in Loop: Header=BB2_550 Depth=3
	s_mov_b64 vcc, -1
	s_or_b64 s[30:31], s[30:31], exec
	s_and_saveexec_b64 s[36:37], s[34:35]
	s_cbranch_execz .LBB2_549
	s_branch .LBB2_553
.LBB2_552:                              ;   in Loop: Header=BB2_550 Depth=3
	s_trap 2
	ds_read_b64 v[8:9], v0
	s_andn2_b64 s[34:35], s[34:35], exec
	s_mov_b32 s38, 0
	s_waitcnt lgkmcnt(0)
	flat_load_dword v8, v[8:9] glc
	s_waitcnt vmcnt(0) lgkmcnt(0)
	buffer_wbinvl1_vol
	v_cmp_eq_u32_e32 vcc, 0, v8
	s_and_b64 vcc, vcc, exec
	s_or_b64 s[34:35], s[34:35], vcc
	s_mov_b64 vcc, -1
	s_or_b64 s[30:31], s[30:31], exec
	s_and_saveexec_b64 s[36:37], s[34:35]
	s_cbranch_execz .LBB2_549
.LBB2_553:                              ;   in Loop: Header=BB2_550 Depth=3
	s_sleep 1
	s_trap 2
	ds_read_b64 v[8:9], v0
	s_waitcnt lgkmcnt(0)
	s_andn2_b64 s[30:31], s[30:31], exec
	v_cmp_ge_u64_e32 vcc, v[8:9], v[12:13]
	s_orn2_b64 vcc, vcc, exec
	s_branch .LBB2_549
.LBB2_554:                              ;   in Loop: Header=BB2_495 Depth=2
	s_or_b64 exec, exec, s[92:93]
	s_and_saveexec_b64 s[92:93], s[94:95]
	s_xor_b64 s[92:93], exec, s[92:93]
	s_cbranch_execz .LBB2_556
; %bb.555:                              ;   in Loop: Header=BB2_495 Depth=2
	ds_write_b32 v0, v28
	s_trap 2
.LBB2_556:                              ;   in Loop: Header=BB2_495 Depth=2
	s_or_b64 exec, exec, s[90:91]
	;;#ASMSTART
	s_wakeup
	;;#ASMEND
.LBB2_557:                              ;   in Loop: Header=BB2_495 Depth=2
	s_or_b64 exec, exec, s[42:43]
.LBB2_558:                              ;   in Loop: Header=BB2_495 Depth=2
	s_andn2_saveexec_b64 s[40:41], s[40:41]
	s_cbranch_execz .LBB2_560
; %bb.559:                              ;   in Loop: Header=BB2_495 Depth=2
	s_waitcnt vmcnt(0) lgkmcnt(0)
	buffer_wbinvl1_vol
	s_barrier
.LBB2_560:                              ;   in Loop: Header=BB2_495 Depth=2
	s_or_b64 exec, exec, s[40:41]
.LBB2_561:                              ;   in Loop: Header=BB2_495 Depth=2
	s_or_b64 exec, exec, s[28:29]
	s_trap 2
	s_waitcnt lgkmcnt(0)
	ds_read_b64 v[42:43], v0
	s_waitcnt lgkmcnt(0)
	v_cmp_eq_u64_e32 vcc, 0, v[42:43]
	s_cbranch_vccnz .LBB2_570
; %bb.562:                              ;   in Loop: Header=BB2_495 Depth=2
	s_trap 2
	ds_read_b64 v[44:45], v0
	s_waitcnt lgkmcnt(0)
	v_cmp_eq_u64_e32 vcc, 0, v[44:45]
	s_cbranch_vccnz .LBB2_570
; %bb.563:                              ;   in Loop: Header=BB2_495 Depth=2
	s_trap 2
	ds_read_b64 v[46:47], v0
	v_cmp_eq_u32_e32 vcc, 0, v0
	v_cndmask_b32_e32 v55, 0, v52, vcc
	v_lshlrev_b32_e32 v53, 2, v55
	s_mov_b64 s[28:29], -1
	s_waitcnt lgkmcnt(0)
	v_cmp_ne_u64_e32 vcc, 0, v[46:47]
	s_cbranch_vccz .LBB2_599
; %bb.564:                              ;   in Loop: Header=BB2_495 Depth=2
	s_and_saveexec_b64 s[40:41], s[22:23]
	s_cbranch_execz .LBB2_566
; %bb.565:                              ;   in Loop: Header=BB2_495 Depth=2
	ds_read_b32 v0, v0 offset:720
	s_waitcnt lgkmcnt(0)
	v_and_b32_e32 v0, 15, v0
	v_cmp_eq_u32_e32 vcc, 0, v0
	s_orn2_b64 s[28:29], vcc, exec
.LBB2_566:                              ;   in Loop: Header=BB2_495 Depth=2
	s_or_b64 exec, exec, s[40:41]
	s_and_saveexec_b64 s[40:41], s[22:23]
	s_cbranch_execz .LBB2_568
; %bb.567:                              ;   in Loop: Header=BB2_495 Depth=2
	ds_read_b32 v0, v0 offset:784
	s_waitcnt lgkmcnt(0)
	v_and_b32_e32 v0, 15, v0
	v_cmp_eq_u32_e32 vcc, 0, v0
	s_and_b64 s[42:43], s[28:29], vcc
	s_andn2_b64 s[28:29], s[28:29], exec
	s_and_b64 s[42:43], s[42:43], exec
	s_or_b64 s[28:29], s[28:29], s[42:43]
.LBB2_568:                              ;   in Loop: Header=BB2_495 Depth=2
	s_or_b64 exec, exec, s[40:41]
	buffer_load_dword v8, off, s[0:3], s33 offset:68 ; 4-byte Folded Reload
	s_xor_b64 s[28:29], s[28:29], -1
	v_cndmask_b32_e64 v0, 0, 1, s[28:29]
	s_mov_b64 s[40:41], -1
	v_mov_b32_e32 v49, 0
	v_cmp_ne_u32_e32 vcc, 0, v0
	v_mov_b32_e32 v48, v53
	v_mov_b32_e32 v0, v58
	s_cbranch_vccz .LBB2_571
; %bb.569:                              ;   in Loop: Header=BB2_495 Depth=2
	s_and_saveexec_b64 s[42:43], s[40:41]
	s_cbranch_execnz .LBB2_588
	s_branch .LBB2_598
.LBB2_570:                              ;   in Loop: Header=BB2_495 Depth=2
	s_mov_b64 s[28:29], 0
	s_and_saveexec_b64 s[40:41], s[10:11]
	s_cbranch_execnz .LBB2_629
	s_branch .LBB2_647
.LBB2_571:                              ;   in Loop: Header=BB2_495 Depth=2
	s_waitcnt vmcnt(0)
	v_ashrrev_i32_e32 v8, 31, v53
	v_lshrrev_b32_e32 v8, 22, v8
	v_add_u32_e32 v8, v53, v8
	v_ashrrev_i32_e32 v9, 10, v8
	v_and_b32_e32 v19, 0xfffffc00, v8
	buffer_load_dword v8, off, s[0:3], s33 offset:88 ; 4-byte Folded Reload
	v_sub_u32_e32 v36, v53, v19
	v_cmp_lt_i32_e64 s[28:29], 15, v36
	v_sub_u32_e32 v0, v53, v50
	s_waitcnt vmcnt(0)
	v_addc_co_u32_e64 v30, vcc, v9, v8, s[28:29]
	v_cmp_lt_i32_e32 vcc, 15, v0
	s_and_saveexec_b64 s[90:91], vcc
	s_cbranch_execz .LBB2_577
; %bb.572:                              ;   in Loop: Header=BB2_495 Depth=2
	buffer_load_dword v10, off, s[0:3], s33 offset:124 ; 4-byte Folded Reload
	v_add_co_u32_e32 v18, vcc, v44, v50
	s_trap 2
	ds_read_b64 v[8:9], v0
	v_mov_b32_e32 v34, v55
	s_mov_b64 s[92:93], 0
	s_waitcnt vmcnt(0)
	v_addc_co_u32_e32 v37, vcc, v45, v10, vcc
	v_add_co_u32_e32 v48, vcc, v46, v50
	v_addc_co_u32_e32 v49, vcc, v47, v10, vcc
	v_add_co_u32_e32 v55, vcc, v42, v50
	v_addc_co_u32_e32 v56, vcc, v43, v10, vcc
	s_waitcnt lgkmcnt(0)
	v_add_co_u32_e32 v57, vcc, v8, v50
	v_addc_co_u32_e32 v58, vcc, v9, v10, vcc
.LBB2_573:                              ;   Parent Loop BB2_47 Depth=1
                                        ;     Parent Loop BB2_495 Depth=2
                                        ; =>    This Loop Header: Depth=3
                                        ;         Child Loop BB2_574 Depth 4
	global_load_dwordx4 v[8:11], v[55:56], off glc slc
	global_load_dwordx4 v[14:17], v[57:58], off glc slc
	s_mov_b64 s[94:95], -1
	s_mov_b64 s[30:31], 0
	s_waitcnt vmcnt(0)
	v_mul_f32_e32 v8, v8, v14
	v_mul_f32_e32 v9, v9, v15
	;; [unrolled: 1-line block ×4, first 2 shown]
.LBB2_574:                              ;   Parent Loop BB2_47 Depth=1
                                        ;     Parent Loop BB2_495 Depth=2
                                        ;       Parent Loop BB2_573 Depth=3
                                        ; =>      This Inner Loop Header: Depth=4
	s_cmp_eq_u32 s30, 1
	s_cselect_b64 s[40:41], -1, 0
	v_cndmask_b32_e64 v15, v37, v49, s[40:41]
	v_cndmask_b32_e64 v14, v18, v48, s[40:41]
	global_store_dwordx4 v[14:15], v[8:11], off glc slc
	v_add_co_u32_e32 v14, vcc, 0x400, v14
	s_cmp_eq_u32 s30, 0
	v_addc_co_u32_e32 v15, vcc, 0, v15, vcc
	s_cselect_b64 vcc, -1, 0
	s_and_b64 s[42:43], exec, s[94:95]
	s_mov_b64 s[30:31], 1
	v_cndmask_b32_e64 v48, v48, v14, s[40:41]
	s_mov_b64 s[94:95], 0
	v_cndmask_b32_e64 v49, v49, v15, s[40:41]
	v_cndmask_b32_e32 v37, v37, v15, vcc
	v_cndmask_b32_e32 v18, v18, v14, vcc
	s_mov_b64 vcc, s[42:43]
	s_cbranch_vccnz .LBB2_574
; %bb.575:                              ;   in Loop: Header=BB2_573 Depth=3
	v_add_co_u32_e32 v55, vcc, v55, v1
	v_addc_co_u32_e32 v56, vcc, v56, v31, vcc
	v_add_co_u32_e32 v57, vcc, v57, v1
	v_addc_co_u32_e32 v58, vcc, v58, v31, vcc
	;; [unrolled: 2-line block ×4, first 2 shown]
	v_sub_u32_e32 v0, v0, v32
	v_cmp_gt_i32_e32 vcc, 16, v0
	s_or_b64 s[92:93], vcc, s[92:93]
	v_sub_u32_e32 v30, v30, v62
	s_andn2_b64 exec, exec, s[92:93]
	s_cbranch_execnz .LBB2_573
; %bb.576:                              ;   in Loop: Header=BB2_495 Depth=2
	s_or_b64 exec, exec, s[92:93]
	buffer_load_dword v58, off, s[0:3], s33 offset:144 ; 4-byte Folded Reload
	v_ashrrev_i32_e32 v57, 31, v61
	v_mov_b32_e32 v56, 0xd0
	v_mov_b32_e32 v55, v34
.LBB2_577:                              ;   in Loop: Header=BB2_495 Depth=2
	s_or_b64 exec, exec, s[90:91]
	v_and_b32_e32 v9, 12, v53
	v_cndmask_b32_e64 v18, v36, v9, s[28:29]
	v_mov_b32_e32 v49, 0
	v_cmp_ne_u32_e32 vcc, 0, v18
	s_mov_b64 s[40:41], 0
                                        ; implicit-def: $vgpr48
                                        ; implicit-def: $vgpr0
                                        ; implicit-def: $vgpr8
	s_and_saveexec_b64 s[90:91], vcc
	s_cbranch_execz .LBB2_587
; %bb.578:                              ;   in Loop: Header=BB2_495 Depth=2
	buffer_load_dword v8, off, s[0:3], s33 offset:104 ; 4-byte Folded Reload
	v_sub_u32_e32 v0, v36, v9
	v_cndmask_b32_e64 v0, 0, v0, s[28:29]
	v_cmp_lt_i32_e32 vcc, 0, v30
	v_add_u32_e32 v35, v0, v19
	v_cndmask_b32_e32 v0, 0, v62, vcc
	v_sub_u32_e32 v0, v0, v30
	v_ashrrev_i32_e32 v10, 31, v18
	v_lshrrev_b32_e32 v10, 22, v10
	v_add_u32_e32 v10, v18, v10
	v_and_b32_e32 v15, 0xfffffc00, v10
	v_sub_u32_e32 v30, v18, v15
	v_ashrrev_i32_e32 v11, 10, v10
	v_cmp_lt_i32_e64 s[28:29], 15, v30
	v_addc_co_u32_e64 v10, vcc, 0, v11, s[28:29]
	s_waitcnt vmcnt(0)
	v_lshl_add_u32 v0, v0, 6, v8
	v_ashrrev_i32_e32 v8, 31, v0
	v_lshrrev_b32_e32 v8, 26, v8
	v_add_u32_e32 v8, v0, v8
	v_ashrrev_i32_e32 v9, 6, v8
	v_and_b32_e32 v8, 0xffffffc0, v8
	v_sub_u32_e32 v14, v0, v8
	v_lshlrev_b32_e32 v0, 4, v14
	v_lshl_add_u32 v8, v9, 10, v0
	v_sub_u32_e32 v0, v18, v8
	v_sub_u32_e32 v19, v10, v9
	v_cmp_lt_i32_e32 vcc, 15, v0
	s_and_saveexec_b64 s[92:93], vcc
	s_cbranch_execz .LBB2_584
; %bb.579:                              ;   in Loop: Header=BB2_495 Depth=2
	v_add_u32_e32 v10, v8, v35
	v_ashrrev_i32_e32 v11, 31, v10
	v_add_co_u32_e32 v36, vcc, v10, v44
	buffer_store_dword v15, off, s[0:3], s33 offset:192 ; 4-byte Folded Spill
	buffer_store_dword v14, off, s[0:3], s33 offset:188 ; 4-byte Folded Spill
	v_addc_co_u32_e32 v37, vcc, v11, v45, vcc
	s_trap 2
	ds_read_b64 v[8:9], v0
	v_add_co_u32_e32 v48, vcc, v10, v46
	v_addc_co_u32_e32 v49, vcc, v11, v47, vcc
	v_mov_b32_e32 v34, v55
	v_add_co_u32_e32 v55, vcc, v10, v42
	v_addc_co_u32_e32 v56, vcc, v11, v43, vcc
	s_waitcnt lgkmcnt(0)
	v_add_co_u32_e32 v57, vcc, v8, v10
	v_addc_co_u32_e32 v58, vcc, v9, v11, vcc
	s_mov_b64 s[94:95], 0
.LBB2_580:                              ;   Parent Loop BB2_47 Depth=1
                                        ;     Parent Loop BB2_495 Depth=2
                                        ; =>    This Loop Header: Depth=3
                                        ;         Child Loop BB2_581 Depth 4
	global_load_dwordx4 v[8:11], v[55:56], off glc slc
	global_load_dwordx4 v[14:17], v[57:58], off glc slc
	s_mov_b64 s[30:31], -1
	s_mov_b64 s[34:35], 0
	s_waitcnt vmcnt(0)
	v_mul_f32_e32 v8, v8, v14
	v_mul_f32_e32 v9, v9, v15
	;; [unrolled: 1-line block ×4, first 2 shown]
.LBB2_581:                              ;   Parent Loop BB2_47 Depth=1
                                        ;     Parent Loop BB2_495 Depth=2
                                        ;       Parent Loop BB2_580 Depth=3
                                        ; =>      This Inner Loop Header: Depth=4
	s_cmp_eq_u32 s34, 1
	s_cselect_b64 s[40:41], -1, 0
	v_cndmask_b32_e64 v15, v37, v49, s[40:41]
	v_cndmask_b32_e64 v14, v36, v48, s[40:41]
	global_store_dwordx4 v[14:15], v[8:11], off glc slc
	v_add_co_u32_e32 v14, vcc, 0x400, v14
	s_cmp_eq_u32 s34, 0
	v_addc_co_u32_e32 v15, vcc, 0, v15, vcc
	s_cselect_b64 vcc, -1, 0
	s_and_b64 s[42:43], exec, s[30:31]
	s_mov_b64 s[34:35], 1
	v_cndmask_b32_e64 v48, v48, v14, s[40:41]
	s_mov_b64 s[30:31], 0
	v_cndmask_b32_e64 v49, v49, v15, s[40:41]
	v_cndmask_b32_e32 v37, v37, v15, vcc
	v_cndmask_b32_e32 v36, v36, v14, vcc
	s_mov_b64 vcc, s[42:43]
	s_cbranch_vccnz .LBB2_581
; %bb.582:                              ;   in Loop: Header=BB2_580 Depth=3
	v_add_co_u32_e32 v55, vcc, v55, v1
	v_addc_co_u32_e32 v56, vcc, v56, v31, vcc
	v_add_co_u32_e32 v57, vcc, v57, v1
	v_addc_co_u32_e32 v58, vcc, v58, v31, vcc
	;; [unrolled: 2-line block ×4, first 2 shown]
	v_sub_u32_e32 v0, v0, v32
	v_cmp_gt_i32_e32 vcc, 16, v0
	s_or_b64 s[94:95], vcc, s[94:95]
	v_sub_u32_e32 v19, v19, v62
	s_andn2_b64 exec, exec, s[94:95]
	s_cbranch_execnz .LBB2_580
; %bb.583:                              ;   in Loop: Header=BB2_495 Depth=2
	s_or_b64 exec, exec, s[94:95]
	buffer_load_dword v58, off, s[0:3], s33 offset:144 ; 4-byte Folded Reload
	buffer_load_dword v14, off, s[0:3], s33 offset:188 ; 4-byte Folded Reload
	;; [unrolled: 1-line block ×3, first 2 shown]
	v_ashrrev_i32_e32 v57, 31, v61
	v_mov_b32_e32 v56, 0xd0
	v_mov_b32_e32 v55, v34
.LBB2_584:                              ;   in Loop: Header=BB2_495 Depth=2
	s_or_b64 exec, exec, s[92:93]
	v_and_b32_e32 v9, 12, v18
	v_cndmask_b32_e64 v48, v30, v9, s[28:29]
	v_mov_b32_e32 v49, 0
	v_cmp_ne_u32_e32 vcc, 0, v48
	s_mov_b64 s[42:43], 0
                                        ; implicit-def: $vgpr0
                                        ; implicit-def: $vgpr8
	s_and_saveexec_b64 s[40:41], vcc
	s_cbranch_execz .LBB2_586
; %bb.585:                              ;   in Loop: Header=BB2_495 Depth=2
	v_sub_u32_e32 v0, v30, v9
	v_cndmask_b32_e64 v0, 0, v0, s[28:29]
	v_cmp_lt_i32_e32 vcc, 0, v19
	s_waitcnt vmcnt(0)
	v_add3_u32 v49, v15, v35, v0
	v_cndmask_b32_e32 v0, 0, v62, vcc
	v_sub_u32_e32 v0, v0, v19
	v_lshl_add_u32 v0, v0, 6, v14
	v_ashrrev_i32_e32 v8, 31, v0
	v_lshrrev_b32_e32 v8, 26, v8
	v_add_u32_e32 v8, v0, v8
	v_ashrrev_i32_e32 v8, 6, v8
	s_mov_b64 s[42:43], exec
.LBB2_586:                              ;   in Loop: Header=BB2_495 Depth=2
	s_or_b64 exec, exec, s[40:41]
	s_and_b64 s[40:41], s[42:43], exec
.LBB2_587:                              ;   in Loop: Header=BB2_495 Depth=2
	s_or_b64 exec, exec, s[90:91]
	s_and_saveexec_b64 s[42:43], s[40:41]
	s_cbranch_execz .LBB2_598
.LBB2_588:                              ;   in Loop: Header=BB2_495 Depth=2
	v_ashrrev_i32_e32 v9, 31, v48
	v_lshrrev_b32_e32 v9, 23, v9
	v_add_u32_e32 v9, v48, v9
	s_waitcnt vmcnt(0)
	v_ashrrev_i32_e32 v15, 9, v9
	v_sub_u32_e32 v18, v15, v8
	v_ashrrev_i32_e32 v9, 31, v0
	v_cmp_lt_i32_e32 vcc, 0, v18
	v_lshrrev_b32_e32 v19, 26, v9
	s_and_saveexec_b64 s[28:29], vcc
	s_cbranch_execz .LBB2_592
; %bb.589:                              ;   in Loop: Header=BB2_495 Depth=2
	v_add_u32_e32 v9, v0, v19
	v_and_b32_e32 v9, 0x3fffffc0, v9
	v_sub_u32_e32 v9, v0, v9
	v_lshlrev_b32_e32 v9, 2, v9
	v_lshlrev_b32_e32 v8, 9, v8
	v_add3_u32 v14, v9, v49, v8
	v_ashrrev_i32_e32 v22, 31, v14
	v_add_co_u32_e32 v8, vcc, v14, v44
	v_addc_co_u32_e32 v9, vcc, v22, v45, vcc
	s_trap 2
	ds_read_b64 v[16:17], v0
	v_add_co_u32_e32 v10, vcc, v14, v46
	v_addc_co_u32_e32 v11, vcc, v22, v47, vcc
	v_mov_b32_e32 v30, v55
	v_add_co_u32_e32 v55, vcc, v14, v42
	v_addc_co_u32_e32 v56, vcc, v22, v43, vcc
	s_waitcnt lgkmcnt(0)
	v_add_co_u32_e32 v57, vcc, v16, v14
	v_addc_co_u32_e32 v58, vcc, v17, v22, vcc
	s_mov_b64 s[40:41], 0
.LBB2_590:                              ;   Parent Loop BB2_47 Depth=1
                                        ;     Parent Loop BB2_495 Depth=2
                                        ; =>    This Inner Loop Header: Depth=3
	flat_load_dword v14, v[55:56] glc slc
	flat_load_dword v16, v[55:56] offset:256 glc slc
	flat_load_dword v17, v[57:58] glc slc
	flat_load_dword v22, v[57:58] offset:256 glc slc
	v_add_co_u32_e32 v55, vcc, v55, v33
	v_addc_co_u32_e32 v56, vcc, 0, v56, vcc
	v_add_co_u32_e32 v57, vcc, v57, v33
	v_addc_co_u32_e32 v58, vcc, 0, v58, vcc
	v_sub_u32_e32 v18, v18, v62
	v_cmp_gt_i32_e32 vcc, 1, v18
	s_or_b64 s[40:41], vcc, s[40:41]
	s_waitcnt vmcnt(0) lgkmcnt(0)
	v_mul_f32_e32 v14, v14, v17
	v_mul_f32_e32 v16, v16, v22
	flat_store_dword v[8:9], v14 glc slc
	flat_store_dword v[8:9], v16 offset:256 glc slc
	flat_store_dword v[10:11], v14 glc slc
	flat_store_dword v[10:11], v16 offset:256 glc slc
	v_add_co_u32_e32 v8, vcc, v8, v33
	v_addc_co_u32_e32 v9, vcc, 0, v9, vcc
	v_add_co_u32_e32 v10, vcc, v10, v33
	v_addc_co_u32_e32 v11, vcc, 0, v11, vcc
	s_andn2_b64 exec, exec, s[40:41]
	s_cbranch_execnz .LBB2_590
; %bb.591:                              ;   in Loop: Header=BB2_495 Depth=2
	s_or_b64 exec, exec, s[40:41]
	buffer_load_dword v58, off, s[0:3], s33 offset:144 ; 4-byte Folded Reload
	buffer_load_dword v22, off, s[0:3], s33 offset:92 ; 4-byte Folded Reload
	;; [unrolled: 1-line block ×3, first 2 shown]
	v_ashrrev_i32_e32 v57, 31, v61
	v_mov_b32_e32 v56, 0xd0
	v_mov_b32_e32 v55, v30
.LBB2_592:                              ;   in Loop: Header=BB2_495 Depth=2
	s_or_b64 exec, exec, s[28:29]
	v_lshlrev_b32_e32 v8, 9, v15
	v_cmp_ne_u32_e32 vcc, v48, v8
	s_and_b64 exec, exec, vcc
	s_cbranch_execz .LBB2_598
; %bb.593:                              ;   in Loop: Header=BB2_495 Depth=2
	v_add_u32_e32 v9, v0, v19
	v_and_b32_e32 v9, 0xffffffc0, v9
	v_sub_u32_e32 v0, v0, v9
	v_lshlrev_b32_e32 v9, 6, v18
	v_sub_u32_e32 v0, v0, v9
	v_ashrrev_i32_e32 v9, 31, v0
	v_lshrrev_b32_e32 v9, 26, v9
	v_add_u32_e32 v9, v0, v9
	v_and_b32_e32 v10, 0x3fffffc0, v9
	v_sub_u32_e32 v0, v0, v10
	v_lshlrev_b32_e32 v9, 2, v9
	v_and_b32_e32 v9, 0xffffff00, v9
	v_lshlrev_b32_e32 v0, 2, v0
	v_add3_u32 v8, v9, v0, v8
	v_sub_u32_e32 v0, v48, v8
	v_cmp_lt_i32_e32 vcc, 3, v0
	s_and_b64 exec, exec, vcc
	s_cbranch_execz .LBB2_598
; %bb.594:                              ;   in Loop: Header=BB2_495 Depth=2
	v_add_u32_e32 v14, v8, v49
	v_ashrrev_i32_e32 v15, 31, v14
	v_add_co_u32_e32 v18, vcc, v14, v44
	v_addc_co_u32_e32 v19, vcc, v15, v45, vcc
	s_trap 2
	ds_read_b64 v[10:11], v0
	v_add_co_u32_e32 v30, vcc, v14, v46
	v_addc_co_u32_e32 v36, vcc, v15, v47, vcc
	v_add_co_u32_e32 v8, vcc, v14, v42
	v_addc_co_u32_e32 v9, vcc, v15, v43, vcc
	s_waitcnt lgkmcnt(0)
	v_add_co_u32_e32 v10, vcc, v10, v14
	v_addc_co_u32_e32 v11, vcc, v11, v15, vcc
	s_mov_b64 s[90:91], 0
.LBB2_595:                              ;   Parent Loop BB2_47 Depth=1
                                        ;     Parent Loop BB2_495 Depth=2
                                        ; =>    This Loop Header: Depth=3
                                        ;         Child Loop BB2_596 Depth 4
	flat_load_dword v14, v[8:9] glc slc
	flat_load_dword v15, v[10:11] glc slc
	s_mov_b64 s[92:93], -1
	s_mov_b64 s[94:95], 0
	s_waitcnt vmcnt(0) lgkmcnt(0)
	v_mul_f32_e32 v15, v14, v15
.LBB2_596:                              ;   Parent Loop BB2_47 Depth=1
                                        ;     Parent Loop BB2_495 Depth=2
                                        ;       Parent Loop BB2_595 Depth=3
                                        ; =>      This Inner Loop Header: Depth=4
	s_cmp_eq_u32 s94, 1
	s_cselect_b64 s[28:29], -1, 0
	v_cndmask_b32_e64 v16, v18, v30, s[28:29]
	v_cndmask_b32_e64 v17, v19, v36, s[28:29]
	v_add_co_u32_e32 v14, vcc, 0x100, v16
	s_cmp_eq_u32 s94, 0
	flat_store_dword v[16:17], v15 glc slc
	v_addc_co_u32_e32 v16, vcc, 0, v17, vcc
	s_cselect_b64 vcc, -1, 0
	s_and_b64 s[40:41], exec, s[92:93]
	s_mov_b64 s[94:95], 1
	v_cndmask_b32_e64 v30, v30, v14, s[28:29]
	s_mov_b64 s[92:93], 0
	v_cndmask_b32_e64 v36, v36, v16, s[28:29]
	v_cndmask_b32_e32 v19, v19, v16, vcc
	v_cndmask_b32_e32 v18, v18, v14, vcc
	s_mov_b64 vcc, s[40:41]
	s_cbranch_vccnz .LBB2_596
; %bb.597:                              ;   in Loop: Header=BB2_595 Depth=3
	buffer_load_dword v14, off, s[0:3], s33 offset:64 ; 4-byte Folded Reload
	buffer_load_dword v15, off, s[0:3], s33 offset:60 ; 4-byte Folded Reload
	v_sub_u32_e32 v0, v0, v4
	s_waitcnt vmcnt(0)
	v_add_co_u32_e32 v8, vcc, v8, v14
	v_addc_co_u32_e32 v9, vcc, v9, v59, vcc
	v_add_co_u32_e32 v10, vcc, v10, v14
	v_addc_co_u32_e32 v11, vcc, v11, v59, vcc
	v_add_u32_e32 v14, 0xffffff00, v4
	v_add_co_u32_e32 v18, vcc, v18, v14
	v_addc_co_u32_e32 v19, vcc, v19, v15, vcc
	v_cmp_gt_i32_e32 vcc, 4, v0
	s_or_b64 s[90:91], vcc, s[90:91]
	v_add_co_u32_e32 v30, vcc, v30, v14
	v_addc_co_u32_e32 v36, vcc, v36, v15, vcc
	s_andn2_b64 exec, exec, s[90:91]
	s_cbranch_execnz .LBB2_595
.LBB2_598:                              ;   in Loop: Header=BB2_495 Depth=2
	s_or_b64 exec, exec, s[42:43]
	buffer_load_dword v34, off, s[0:3], s33 offset:72 ; 4-byte Folded Reload
	buffer_load_dword v35, off, s[0:3], s33 offset:76 ; 4-byte Folded Reload
	;; [unrolled: 1-line block ×4, first 2 shown]
	s_mov_b64 s[28:29], 0
	v_mov_b32_e32 v30, 0x90
.LBB2_599:                              ;   in Loop: Header=BB2_495 Depth=2
	s_and_b64 vcc, exec, s[28:29]
	v_lshlrev_b32_e32 v46, 11, v62
	s_cbranch_vccz .LBB2_628
; %bb.600:                              ;   in Loop: Header=BB2_495 Depth=2
	s_mov_b64 s[28:29], -1
	s_and_saveexec_b64 s[40:41], s[22:23]
	s_cbranch_execz .LBB2_602
; %bb.601:                              ;   in Loop: Header=BB2_495 Depth=2
	ds_read_b32 v0, v0 offset:720
	s_waitcnt lgkmcnt(0)
	v_and_b32_e32 v0, 15, v0
	v_cmp_eq_u32_e32 vcc, 0, v0
	s_orn2_b64 s[28:29], vcc, exec
.LBB2_602:                              ;   in Loop: Header=BB2_495 Depth=2
	s_or_b64 exec, exec, s[40:41]
	s_and_saveexec_b64 s[40:41], s[18:19]
	s_cbranch_execz .LBB2_604
; %bb.603:                              ;   in Loop: Header=BB2_495 Depth=2
	ds_read_b32 v0, v0 offset:784
	s_waitcnt lgkmcnt(0)
	v_and_b32_e32 v0, 15, v0
	v_cmp_eq_u32_e32 vcc, 0, v0
	s_and_b64 s[42:43], s[28:29], vcc
	s_andn2_b64 s[28:29], s[28:29], exec
	s_and_b64 s[42:43], s[42:43], exec
	s_or_b64 s[28:29], s[28:29], s[42:43]
.LBB2_604:                              ;   in Loop: Header=BB2_495 Depth=2
	s_or_b64 exec, exec, s[40:41]
	s_xor_b64 s[28:29], s[28:29], -1
	v_cndmask_b32_e64 v0, 0, 1, s[28:29]
	s_mov_b64 s[42:43], -1
	v_mov_b32_e32 v48, 0
	v_cmp_ne_u32_e32 vcc, 0, v0
	s_cbranch_vccz .LBB2_606
; %bb.605:                              ;   in Loop: Header=BB2_495 Depth=2
	buffer_load_dword v8, off, s[0:3], s33 offset:68 ; 4-byte Folded Reload
	s_waitcnt vmcnt(0)
	v_mov_b32_e32 v0, v58
	s_and_saveexec_b64 s[28:29], s[42:43]
	s_cbranch_execnz .LBB2_619
	s_branch .LBB2_627
.LBB2_606:                              ;   in Loop: Header=BB2_495 Depth=2
	s_waitcnt vmcnt(0)
	v_ashrrev_i32_e32 v8, 31, v53
	v_lshrrev_b32_e32 v8, 22, v8
	v_add_u32_e32 v8, v53, v8
	v_ashrrev_i32_e32 v9, 10, v8
	v_and_b32_e32 v15, 0xfffffc00, v8
	buffer_load_dword v8, off, s[0:3], s33 offset:88 ; 4-byte Folded Reload
	v_sub_u32_e32 v19, v53, v15
	v_cmp_lt_i32_e32 vcc, 15, v19
	v_sub_u32_e32 v0, v53, v50
	s_waitcnt vmcnt(0)
	v_addc_co_u32_e64 v30, s[28:29], v9, v8, vcc
	v_cmp_lt_i32_e64 s[28:29], 15, v0
	s_and_saveexec_b64 s[40:41], s[28:29]
	s_cbranch_execz .LBB2_610
; %bb.607:                              ;   in Loop: Header=BB2_495 Depth=2
	s_trap 2
	buffer_load_dword v14, off, s[0:3], s33 offset:124 ; 4-byte Folded Reload
	ds_read_b64 v[10:11], v0
	v_add_co_u32_e64 v8, s[28:29], v42, v50
	v_mov_b32_e32 v16, v55
	s_mov_b64 s[42:43], 0
	s_waitcnt vmcnt(0)
	v_addc_co_u32_e64 v9, s[28:29], v43, v14, s[28:29]
	s_waitcnt lgkmcnt(0)
	v_add_co_u32_e64 v10, s[28:29], v10, v50
	v_addc_co_u32_e64 v11, s[28:29], v11, v14, s[28:29]
	v_add_co_u32_e64 v46, s[28:29], v44, v50
	v_addc_co_u32_e64 v47, s[28:29], v45, v14, s[28:29]
.LBB2_608:                              ;   Parent Loop BB2_47 Depth=1
                                        ;     Parent Loop BB2_495 Depth=2
                                        ; =>    This Inner Loop Header: Depth=3
	global_load_dwordx4 v[48:51], v[8:9], off glc slc
	global_load_dwordx4 v[55:58], v[10:11], off glc slc
	v_add_co_u32_e64 v8, s[28:29], v8, v32
	v_addc_co_u32_e64 v9, s[28:29], 0, v9, s[28:29]
	v_add_co_u32_e64 v10, s[28:29], v10, v32
	v_addc_co_u32_e64 v11, s[28:29], 0, v11, s[28:29]
	v_sub_u32_e32 v0, v0, v32
	v_cmp_gt_i32_e64 s[28:29], 16, v0
	s_or_b64 s[42:43], s[28:29], s[42:43]
	v_sub_u32_e32 v30, v30, v62
	s_waitcnt vmcnt(0)
	v_mul_f32_e32 v48, v48, v55
	v_mul_f32_e32 v49, v49, v56
	;; [unrolled: 1-line block ×4, first 2 shown]
	global_store_dwordx4 v[46:47], v[48:51], off glc slc
	v_add_co_u32_e64 v46, s[28:29], v46, v32
	v_addc_co_u32_e64 v47, s[28:29], 0, v47, s[28:29]
	s_andn2_b64 exec, exec, s[42:43]
	s_cbranch_execnz .LBB2_608
; %bb.609:                              ;   in Loop: Header=BB2_495 Depth=2
	s_or_b64 exec, exec, s[42:43]
	buffer_load_dword v58, off, s[0:3], s33 offset:144 ; 4-byte Folded Reload
	buffer_load_dword v50, off, s[0:3], s33 offset:100 ; 4-byte Folded Reload
	v_ashrrev_i32_e32 v57, 31, v61
	v_mov_b32_e32 v51, 0xc8
	v_mov_b32_e32 v56, 0xd0
	v_lshlrev_b32_e32 v46, 11, v62
	v_mov_b32_e32 v55, v16
.LBB2_610:                              ;   in Loop: Header=BB2_495 Depth=2
	s_or_b64 exec, exec, s[40:41]
	v_and_b32_e32 v9, 12, v53
	v_cndmask_b32_e32 v18, v19, v9, vcc
	v_mov_b32_e32 v48, 0
	v_cmp_ne_u32_e64 s[28:29], 0, v18
	s_mov_b64 s[42:43], 0
                                        ; implicit-def: $vgpr53
                                        ; implicit-def: $vgpr0
                                        ; implicit-def: $vgpr8
	s_and_saveexec_b64 s[40:41], s[28:29]
	s_cbranch_execz .LBB2_618
; %bb.611:                              ;   in Loop: Header=BB2_495 Depth=2
	buffer_load_dword v8, off, s[0:3], s33 offset:104 ; 4-byte Folded Reload
	v_sub_u32_e32 v0, v19, v9
	v_cndmask_b32_e32 v0, 0, v0, vcc
	v_cmp_lt_i32_e32 vcc, 0, v30
	v_add_u32_e32 v19, v0, v15
	v_cndmask_b32_e32 v0, 0, v62, vcc
	v_sub_u32_e32 v0, v0, v30
	v_ashrrev_i32_e32 v10, 31, v18
	v_lshrrev_b32_e32 v10, 22, v10
	v_add_u32_e32 v10, v18, v10
	v_and_b32_e32 v15, 0xfffffc00, v10
	v_sub_u32_e32 v37, v18, v15
	v_ashrrev_i32_e32 v11, 10, v10
	v_cmp_lt_i32_e32 vcc, 15, v37
	v_addc_co_u32_e64 v10, s[28:29], 0, v11, vcc
	s_waitcnt vmcnt(0)
	v_lshl_add_u32 v0, v0, 6, v8
	v_ashrrev_i32_e32 v8, 31, v0
	v_lshrrev_b32_e32 v8, 26, v8
	v_add_u32_e32 v8, v0, v8
	v_ashrrev_i32_e32 v9, 6, v8
	v_and_b32_e32 v8, 0xffffffc0, v8
	v_sub_u32_e32 v30, v0, v8
	v_lshlrev_b32_e32 v0, 4, v30
	v_lshl_add_u32 v8, v9, 10, v0
	v_sub_u32_e32 v0, v18, v8
	v_sub_u32_e32 v36, v10, v9
	v_cmp_lt_i32_e64 s[28:29], 15, v0
	s_and_saveexec_b64 s[42:43], s[28:29]
	s_cbranch_execz .LBB2_615
; %bb.612:                              ;   in Loop: Header=BB2_495 Depth=2
	s_trap 2
	ds_read_b64 v[10:11], v0
	v_add_u32_e32 v14, v8, v19
	v_ashrrev_i32_e32 v16, 31, v14
	v_add_co_u32_e64 v8, s[28:29], v14, v42
	v_addc_co_u32_e64 v9, s[28:29], v16, v43, s[28:29]
	s_waitcnt lgkmcnt(0)
	v_add_co_u32_e64 v10, s[28:29], v10, v14
	v_addc_co_u32_e64 v11, s[28:29], v11, v16, s[28:29]
	v_add_co_u32_e64 v46, s[28:29], v14, v44
	v_mov_b32_e32 v17, v55
	v_addc_co_u32_e64 v47, s[28:29], v16, v45, s[28:29]
	s_mov_b64 s[90:91], 0
.LBB2_613:                              ;   Parent Loop BB2_47 Depth=1
                                        ;     Parent Loop BB2_495 Depth=2
                                        ; =>    This Inner Loop Header: Depth=3
	global_load_dwordx4 v[48:51], v[8:9], off glc slc
	global_load_dwordx4 v[55:58], v[10:11], off glc slc
	v_add_co_u32_e64 v8, s[28:29], v8, v32
	v_addc_co_u32_e64 v9, s[28:29], 0, v9, s[28:29]
	v_add_co_u32_e64 v10, s[28:29], v10, v32
	v_addc_co_u32_e64 v11, s[28:29], 0, v11, s[28:29]
	v_sub_u32_e32 v0, v0, v32
	v_cmp_gt_i32_e64 s[28:29], 16, v0
	s_or_b64 s[90:91], s[28:29], s[90:91]
	v_sub_u32_e32 v36, v36, v62
	s_waitcnt vmcnt(0)
	v_mul_f32_e32 v48, v48, v55
	v_mul_f32_e32 v49, v49, v56
	;; [unrolled: 1-line block ×4, first 2 shown]
	global_store_dwordx4 v[46:47], v[48:51], off glc slc
	v_add_co_u32_e64 v46, s[28:29], v46, v32
	v_addc_co_u32_e64 v47, s[28:29], 0, v47, s[28:29]
	s_andn2_b64 exec, exec, s[90:91]
	s_cbranch_execnz .LBB2_613
; %bb.614:                              ;   in Loop: Header=BB2_495 Depth=2
	s_or_b64 exec, exec, s[90:91]
	buffer_load_dword v58, off, s[0:3], s33 offset:144 ; 4-byte Folded Reload
	buffer_load_dword v50, off, s[0:3], s33 offset:100 ; 4-byte Folded Reload
	v_ashrrev_i32_e32 v57, 31, v61
	v_mov_b32_e32 v51, 0xc8
	v_mov_b32_e32 v56, 0xd0
	v_lshlrev_b32_e32 v46, 11, v62
	v_mov_b32_e32 v55, v17
.LBB2_615:                              ;   in Loop: Header=BB2_495 Depth=2
	s_or_b64 exec, exec, s[42:43]
	v_and_b32_e32 v9, 12, v18
	v_cndmask_b32_e32 v53, v37, v9, vcc
	v_mov_b32_e32 v48, 0
	v_cmp_ne_u32_e64 s[28:29], 0, v53
	s_mov_b64 s[90:91], 0
                                        ; implicit-def: $vgpr0
                                        ; implicit-def: $vgpr8
	s_and_saveexec_b64 s[42:43], s[28:29]
	s_cbranch_execz .LBB2_617
; %bb.616:                              ;   in Loop: Header=BB2_495 Depth=2
	v_sub_u32_e32 v0, v37, v9
	v_cndmask_b32_e32 v0, 0, v0, vcc
	v_cmp_lt_i32_e32 vcc, 0, v36
	v_add3_u32 v48, v15, v19, v0
	v_cndmask_b32_e32 v0, 0, v62, vcc
	v_sub_u32_e32 v0, v0, v36
	v_lshl_add_u32 v0, v0, 6, v30
	v_ashrrev_i32_e32 v8, 31, v0
	v_lshrrev_b32_e32 v8, 26, v8
	v_add_u32_e32 v8, v0, v8
	v_ashrrev_i32_e32 v8, 6, v8
	s_mov_b64 s[90:91], exec
.LBB2_617:                              ;   in Loop: Header=BB2_495 Depth=2
	s_or_b64 exec, exec, s[42:43]
	buffer_load_dword v34, off, s[0:3], s33 offset:72 ; 4-byte Folded Reload
	buffer_load_dword v35, off, s[0:3], s33 offset:76 ; 4-byte Folded Reload
	;; [unrolled: 1-line block ×4, first 2 shown]
	s_and_b64 s[42:43], s[90:91], exec
.LBB2_618:                              ;   in Loop: Header=BB2_495 Depth=2
	s_or_b64 exec, exec, s[40:41]
	v_mov_b32_e32 v30, 0x90
	s_and_saveexec_b64 s[28:29], s[42:43]
	s_cbranch_execz .LBB2_627
.LBB2_619:                              ;   in Loop: Header=BB2_495 Depth=2
	v_ashrrev_i32_e32 v9, 31, v53
	v_lshrrev_b32_e32 v9, 23, v9
	v_add_u32_e32 v9, v53, v9
	v_ashrrev_i32_e32 v19, 9, v9
	v_sub_u32_e32 v15, v19, v8
	v_ashrrev_i32_e32 v9, 31, v0
	v_cmp_lt_i32_e32 vcc, 0, v15
	v_lshrrev_b32_e32 v18, 26, v9
	s_and_saveexec_b64 s[40:41], vcc
	s_cbranch_execz .LBB2_623
; %bb.620:                              ;   in Loop: Header=BB2_495 Depth=2
	v_add_u32_e32 v9, v0, v18
	v_and_b32_e32 v9, 0x3fffffc0, v9
	v_sub_u32_e32 v9, v0, v9
	s_trap 2
	ds_read_b64 v[10:11], v0
	v_lshlrev_b32_e32 v9, 2, v9
	v_lshlrev_b32_e32 v8, 9, v8
	v_add3_u32 v14, v9, v48, v8
	v_ashrrev_i32_e32 v16, 31, v14
	v_add_co_u32_e32 v8, vcc, v14, v42
	v_addc_co_u32_e32 v9, vcc, v16, v43, vcc
	s_waitcnt lgkmcnt(0)
	v_add_co_u32_e32 v10, vcc, v10, v14
	v_addc_co_u32_e32 v11, vcc, v11, v16, vcc
	v_add_co_u32_e32 v46, vcc, v14, v44
	v_addc_co_u32_e32 v47, vcc, v16, v45, vcc
	s_mov_b64 s[42:43], 0
.LBB2_621:                              ;   Parent Loop BB2_47 Depth=1
                                        ;     Parent Loop BB2_495 Depth=2
                                        ; =>    This Inner Loop Header: Depth=3
	flat_load_dword v14, v[8:9] glc slc
	flat_load_dword v16, v[8:9] offset:256 glc slc
	flat_load_dword v17, v[10:11] glc slc
	flat_load_dword v22, v[10:11] offset:256 glc slc
	v_add_co_u32_e32 v8, vcc, v8, v33
	v_addc_co_u32_e32 v9, vcc, 0, v9, vcc
	v_add_co_u32_e32 v10, vcc, v10, v33
	v_addc_co_u32_e32 v11, vcc, 0, v11, vcc
	v_sub_u32_e32 v15, v15, v62
	v_cmp_gt_i32_e32 vcc, 1, v15
	s_or_b64 s[42:43], vcc, s[42:43]
	s_waitcnt vmcnt(0) lgkmcnt(0)
	v_mul_f32_e32 v14, v14, v17
	v_mul_f32_e32 v16, v16, v22
	flat_store_dword v[46:47], v14 glc slc
	flat_store_dword v[46:47], v16 offset:256 glc slc
	v_add_co_u32_e32 v46, vcc, v46, v33
	v_addc_co_u32_e32 v47, vcc, 0, v47, vcc
	s_andn2_b64 exec, exec, s[42:43]
	s_cbranch_execnz .LBB2_621
; %bb.622:                              ;   in Loop: Header=BB2_495 Depth=2
	s_or_b64 exec, exec, s[42:43]
	buffer_load_dword v22, off, s[0:3], s33 offset:92 ; 4-byte Folded Reload
	buffer_load_dword v23, off, s[0:3], s33 offset:96 ; 4-byte Folded Reload
	v_lshlrev_b32_e32 v46, 11, v62
.LBB2_623:                              ;   in Loop: Header=BB2_495 Depth=2
	s_or_b64 exec, exec, s[40:41]
	v_lshlrev_b32_e32 v8, 9, v19
	v_cmp_ne_u32_e32 vcc, v53, v8
	s_and_b64 exec, exec, vcc
	s_cbranch_execz .LBB2_627
; %bb.624:                              ;   in Loop: Header=BB2_495 Depth=2
	v_add_u32_e32 v9, v0, v18
	v_and_b32_e32 v9, 0xffffffc0, v9
	v_sub_u32_e32 v0, v0, v9
	v_lshlrev_b32_e32 v9, 6, v15
	v_sub_u32_e32 v0, v0, v9
	v_ashrrev_i32_e32 v9, 31, v0
	v_lshrrev_b32_e32 v9, 26, v9
	v_add_u32_e32 v9, v0, v9
	v_and_b32_e32 v10, 0x3fffffc0, v9
	v_sub_u32_e32 v0, v0, v10
	v_lshlrev_b32_e32 v9, 2, v9
	v_and_b32_e32 v9, 0xffffff00, v9
	v_lshlrev_b32_e32 v0, 2, v0
	v_add3_u32 v8, v9, v0, v8
	v_sub_u32_e32 v0, v53, v8
	v_cmp_lt_i32_e32 vcc, 3, v0
	s_and_b64 exec, exec, vcc
	s_cbranch_execz .LBB2_627
; %bb.625:                              ;   in Loop: Header=BB2_495 Depth=2
	s_trap 2
	ds_read_b64 v[10:11], v0
	v_add_u32_e32 v14, v8, v48
	v_ashrrev_i32_e32 v15, 31, v14
	v_add_co_u32_e32 v8, vcc, v14, v42
	v_addc_co_u32_e32 v9, vcc, v15, v43, vcc
	s_waitcnt lgkmcnt(0)
	v_add_co_u32_e32 v10, vcc, v10, v14
	v_addc_co_u32_e32 v11, vcc, v11, v15, vcc
	v_add_co_u32_e32 v42, vcc, v14, v44
	v_addc_co_u32_e32 v43, vcc, v15, v45, vcc
	s_mov_b64 s[40:41], 0
.LBB2_626:                              ;   Parent Loop BB2_47 Depth=1
                                        ;     Parent Loop BB2_495 Depth=2
                                        ; =>    This Inner Loop Header: Depth=3
	flat_load_dword v14, v[8:9] glc slc
	flat_load_dword v15, v[10:11] glc slc
	v_add_co_u32_e32 v8, vcc, v8, v4
	v_addc_co_u32_e32 v9, vcc, 0, v9, vcc
	v_add_co_u32_e32 v10, vcc, v10, v4
	v_addc_co_u32_e32 v11, vcc, 0, v11, vcc
	v_sub_u32_e32 v0, v0, v4
	v_cmp_gt_i32_e32 vcc, 4, v0
	s_or_b64 s[40:41], vcc, s[40:41]
	s_waitcnt vmcnt(0) lgkmcnt(0)
	v_mul_f32_e32 v14, v14, v15
	flat_store_dword v[42:43], v14 glc slc
	v_add_co_u32_e32 v42, vcc, v42, v4
	v_addc_co_u32_e32 v43, vcc, 0, v43, vcc
	s_andn2_b64 exec, exec, s[40:41]
	s_cbranch_execnz .LBB2_626
.LBB2_627:                              ;   in Loop: Header=BB2_495 Depth=2
	s_or_b64 exec, exec, s[28:29]
.LBB2_628:                              ;   in Loop: Header=BB2_495 Depth=2
	v_cmp_lt_i32_e64 s[28:29], 0, v55
	s_and_saveexec_b64 s[40:41], s[10:11]
	s_cbranch_execz .LBB2_647
.LBB2_629:                              ;   in Loop: Header=BB2_495 Depth=2
	s_and_saveexec_b64 s[42:43], s[56:57]
	s_xor_b64 s[42:43], exec, s[42:43]
	s_cbranch_execz .LBB2_644
; %bb.630:                              ;   in Loop: Header=BB2_495 Depth=2
	s_and_saveexec_b64 s[90:91], s[16:17]
	s_cbranch_execz .LBB2_643
; %bb.631:                              ;   in Loop: Header=BB2_495 Depth=2
	s_mov_b64 s[94:95], exec
	v_mbcnt_lo_u32_b32 v0, s94, 0
	v_mbcnt_hi_u32_b32 v0, s95, v0
	v_cmp_eq_u32_e32 vcc, 0, v0
	s_waitcnt vmcnt(0) lgkmcnt(0)
	buffer_wbinvl1_vol
	s_and_saveexec_b64 s[92:93], vcc
	s_cbranch_execz .LBB2_633
; %bb.632:                              ;   in Loop: Header=BB2_495 Depth=2
	s_bcnt1_i32_b64 s94, s[94:95]
	v_mov_b32_e32 v8, s94
	v_mov_b32_e32 v9, v2
	ds_add_u64 v0, v[8:9]
	s_trap 2
.LBB2_633:                              ;   in Loop: Header=BB2_495 Depth=2
	s_or_b64 exec, exec, s[92:93]
	s_trap 2
	ds_read_b64 v[8:9], v0
	s_waitcnt lgkmcnt(0)
	v_add_co_u32_e32 v12, vcc, v12, v62
	v_addc_co_u32_e32 v13, vcc, 0, v13, vcc
	v_cmp_lt_u64_e32 vcc, v[8:9], v[12:13]
	s_and_saveexec_b64 s[92:93], vcc
	s_cbranch_execz .LBB2_642
; %bb.634:                              ;   in Loop: Header=BB2_495 Depth=2
	s_mov_b32 s48, 0
	s_mov_b64 s[94:95], 0
                                        ; implicit-def: $sgpr30_sgpr31
                                        ; implicit-def: $sgpr34_sgpr35
	s_branch .LBB2_636
.LBB2_635:                              ;   in Loop: Header=BB2_636 Depth=3
	s_or_b64 exec, exec, s[38:39]
	s_and_b64 vcc, exec, vcc
	s_or_b64 s[94:95], vcc, s[94:95]
	s_andn2_b64 vcc, s[30:31], exec
	s_and_b64 s[30:31], s[34:35], exec
	s_or_b64 s[30:31], vcc, s[30:31]
	s_andn2_b64 exec, exec, s[94:95]
	s_cbranch_execz .LBB2_640
.LBB2_636:                              ;   Parent Loop BB2_47 Depth=1
                                        ;     Parent Loop BB2_495 Depth=2
                                        ; =>    This Inner Loop Header: Depth=3
	s_add_i32 s48, s48, 1
	s_cmpk_lg_i32 s48, 0x2710
	s_cselect_b64 s[36:37], -1, 0
	s_and_b64 vcc, exec, s[36:37]
	s_cbranch_vccz .LBB2_638
; %bb.637:                              ;   in Loop: Header=BB2_636 Depth=3
	s_mov_b64 vcc, -1
	s_or_b64 s[34:35], s[34:35], exec
	s_and_saveexec_b64 s[38:39], s[36:37]
	s_cbranch_execz .LBB2_635
	s_branch .LBB2_639
.LBB2_638:                              ;   in Loop: Header=BB2_636 Depth=3
	s_trap 2
	ds_read_b64 v[8:9], v0
	s_andn2_b64 s[36:37], s[36:37], exec
	s_mov_b32 s48, 0
	s_waitcnt lgkmcnt(0)
	flat_load_dword v0, v[8:9] glc
	s_waitcnt vmcnt(0) lgkmcnt(0)
	buffer_wbinvl1_vol
	v_cmp_eq_u32_e32 vcc, 0, v0
	s_and_b64 vcc, vcc, exec
	s_or_b64 s[36:37], s[36:37], vcc
	s_mov_b64 vcc, -1
	s_or_b64 s[34:35], s[34:35], exec
	s_and_saveexec_b64 s[38:39], s[36:37]
	s_cbranch_execz .LBB2_635
.LBB2_639:                              ;   in Loop: Header=BB2_636 Depth=3
	s_sleep 1
	s_trap 2
	ds_read_b64 v[8:9], v0
	s_waitcnt lgkmcnt(0)
	s_andn2_b64 s[34:35], s[34:35], exec
	v_cmp_ge_u64_e32 vcc, v[8:9], v[12:13]
	s_orn2_b64 vcc, vcc, exec
	s_branch .LBB2_635
.LBB2_640:                              ;   in Loop: Header=BB2_495 Depth=2
	s_or_b64 exec, exec, s[94:95]
	s_and_saveexec_b64 s[94:95], s[30:31]
	s_xor_b64 s[94:95], exec, s[94:95]
	s_cbranch_execz .LBB2_642
; %bb.641:                              ;   in Loop: Header=BB2_495 Depth=2
	ds_write_b32 v0, v28
	s_trap 2
.LBB2_642:                              ;   in Loop: Header=BB2_495 Depth=2
	s_or_b64 exec, exec, s[92:93]
	;;#ASMSTART
	s_wakeup
	;;#ASMEND
.LBB2_643:                              ;   in Loop: Header=BB2_495 Depth=2
	s_or_b64 exec, exec, s[90:91]
.LBB2_644:                              ;   in Loop: Header=BB2_495 Depth=2
	s_andn2_saveexec_b64 s[42:43], s[42:43]
	s_cbranch_execz .LBB2_646
; %bb.645:                              ;   in Loop: Header=BB2_495 Depth=2
	s_waitcnt vmcnt(0) lgkmcnt(0)
	buffer_wbinvl1_vol
	s_barrier
.LBB2_646:                              ;   in Loop: Header=BB2_495 Depth=2
	s_or_b64 exec, exec, s[42:43]
.LBB2_647:                              ;   in Loop: Header=BB2_495 Depth=2
	s_or_b64 exec, exec, s[40:41]
	v_and_b32_e32 v0, 16, v60
	s_and_saveexec_b64 s[40:41], s[24:25]
	s_xor_b64 s[40:41], exec, s[40:41]
	s_cbranch_execz .LBB2_651
; %bb.648:                              ;   in Loop: Header=BB2_495 Depth=2
	s_waitcnt vmcnt(0)
	v_and_b32_e32 v8, 16, v60
	v_cmp_ne_u32_e32 vcc, 0, v8
	v_and_b32_e32 v0, 16, v60
	s_and_b64 s[42:43], vcc, s[28:29]
	s_and_saveexec_b64 s[28:29], s[42:43]
	s_cbranch_execz .LBB2_650
; %bb.649:                              ;   in Loop: Header=BB2_495 Depth=2
	v_mov_b32_e32 v0, 1
	s_waitcnt lgkmcnt(0)
	buffer_wbinvl1_vol
.LBB2_650:                              ;   in Loop: Header=BB2_495 Depth=2
	s_or_b64 exec, exec, s[28:29]
.LBB2_651:                              ;   in Loop: Header=BB2_495 Depth=2
	s_andn2_saveexec_b64 s[28:29], s[40:41]
	s_cbranch_execz .LBB2_670
; %bb.652:                              ;   in Loop: Header=BB2_495 Depth=2
	s_and_saveexec_b64 s[40:41], s[56:57]
	s_xor_b64 s[40:41], exec, s[40:41]
	s_cbranch_execz .LBB2_667
; %bb.653:                              ;   in Loop: Header=BB2_495 Depth=2
	s_and_saveexec_b64 s[42:43], s[16:17]
	s_cbranch_execz .LBB2_666
; %bb.654:                              ;   in Loop: Header=BB2_495 Depth=2
	s_mov_b64 s[92:93], exec
	s_waitcnt vmcnt(0)
	v_mbcnt_lo_u32_b32 v8, s92, 0
	v_mbcnt_hi_u32_b32 v8, s93, v8
	v_cmp_eq_u32_e32 vcc, 0, v8
	;;#ASMSTART
	s_waitcnt lgkmcnt(0) vmcnt(0)
	;;#ASMEND
	s_and_saveexec_b64 s[90:91], vcc
	s_cbranch_execz .LBB2_656
; %bb.655:                              ;   in Loop: Header=BB2_495 Depth=2
	s_bcnt1_i32_b64 s92, s[92:93]
	v_mov_b32_e32 v8, s92
	v_mov_b32_e32 v9, v2
	s_waitcnt lgkmcnt(0)
	ds_add_u64 v0, v[8:9]
	s_trap 2
.LBB2_656:                              ;   in Loop: Header=BB2_495 Depth=2
	s_or_b64 exec, exec, s[90:91]
	s_trap 2
	ds_read_b64 v[8:9], v0
	s_waitcnt lgkmcnt(0)
	v_add_co_u32_e32 v12, vcc, v12, v62
	v_addc_co_u32_e32 v13, vcc, 0, v13, vcc
	v_cmp_lt_u64_e32 vcc, v[8:9], v[12:13]
	s_and_saveexec_b64 s[90:91], vcc
	s_cbranch_execz .LBB2_665
; %bb.657:                              ;   in Loop: Header=BB2_495 Depth=2
	s_mov_b32 s38, 0
	s_mov_b64 s[92:93], 0
                                        ; implicit-def: $sgpr94_sgpr95
                                        ; implicit-def: $sgpr30_sgpr31
	s_branch .LBB2_659
.LBB2_658:                              ;   in Loop: Header=BB2_659 Depth=3
	s_or_b64 exec, exec, s[36:37]
	s_and_b64 vcc, exec, vcc
	s_or_b64 s[92:93], vcc, s[92:93]
	s_andn2_b64 s[94:95], s[94:95], exec
	s_and_b64 vcc, s[30:31], exec
	s_or_b64 s[94:95], s[94:95], vcc
	s_andn2_b64 exec, exec, s[92:93]
	s_cbranch_execz .LBB2_663
.LBB2_659:                              ;   Parent Loop BB2_47 Depth=1
                                        ;     Parent Loop BB2_495 Depth=2
                                        ; =>    This Inner Loop Header: Depth=3
	s_add_i32 s38, s38, 1
	s_cmpk_lg_i32 s38, 0x2710
	s_cselect_b64 s[34:35], -1, 0
	s_and_b64 vcc, exec, s[34:35]
	s_cbranch_vccz .LBB2_661
; %bb.660:                              ;   in Loop: Header=BB2_659 Depth=3
	s_mov_b64 vcc, -1
	s_or_b64 s[30:31], s[30:31], exec
	s_and_saveexec_b64 s[36:37], s[34:35]
	s_cbranch_execz .LBB2_658
	s_branch .LBB2_662
.LBB2_661:                              ;   in Loop: Header=BB2_659 Depth=3
	s_trap 2
	ds_read_b64 v[8:9], v0
	s_andn2_b64 s[34:35], s[34:35], exec
	s_mov_b32 s38, 0
	s_waitcnt lgkmcnt(0)
	flat_load_dword v8, v[8:9] glc
	s_waitcnt vmcnt(0) lgkmcnt(0)
	buffer_wbinvl1_vol
	v_cmp_eq_u32_e32 vcc, 0, v8
	s_and_b64 vcc, vcc, exec
	s_or_b64 s[34:35], s[34:35], vcc
	s_mov_b64 vcc, -1
	s_or_b64 s[30:31], s[30:31], exec
	s_and_saveexec_b64 s[36:37], s[34:35]
	s_cbranch_execz .LBB2_658
.LBB2_662:                              ;   in Loop: Header=BB2_659 Depth=3
	s_sleep 1
	s_trap 2
	ds_read_b64 v[8:9], v0
	s_waitcnt lgkmcnt(0)
	s_andn2_b64 s[30:31], s[30:31], exec
	v_cmp_ge_u64_e32 vcc, v[8:9], v[12:13]
	s_orn2_b64 vcc, vcc, exec
	s_branch .LBB2_658
.LBB2_663:                              ;   in Loop: Header=BB2_495 Depth=2
	s_or_b64 exec, exec, s[92:93]
	s_and_saveexec_b64 s[92:93], s[94:95]
	s_xor_b64 s[92:93], exec, s[92:93]
	s_cbranch_execz .LBB2_665
; %bb.664:                              ;   in Loop: Header=BB2_495 Depth=2
	ds_write_b32 v0, v28
	s_trap 2
.LBB2_665:                              ;   in Loop: Header=BB2_495 Depth=2
	s_or_b64 exec, exec, s[90:91]
	;;#ASMSTART
	s_wakeup
	;;#ASMEND
.LBB2_666:                              ;   in Loop: Header=BB2_495 Depth=2
	s_or_b64 exec, exec, s[42:43]
.LBB2_667:                              ;   in Loop: Header=BB2_495 Depth=2
	s_andn2_saveexec_b64 s[40:41], s[40:41]
	s_cbranch_execz .LBB2_669
; %bb.668:                              ;   in Loop: Header=BB2_495 Depth=2
	;;#ASMSTART
	s_waitcnt lgkmcnt(0) vmcnt(0)
	;;#ASMEND
	s_waitcnt vmcnt(0) lgkmcnt(0)
	s_barrier
.LBB2_669:                              ;   in Loop: Header=BB2_495 Depth=2
	s_or_b64 exec, exec, s[40:41]
.LBB2_670:                              ;   in Loop: Header=BB2_495 Depth=2
	s_or_b64 exec, exec, s[28:29]
	v_cmp_ne_u32_e32 vcc, 0, v0
	s_xor_b64 s[28:29], s[12:13], -1
	s_and_b64 s[40:41], vcc, s[28:29]
	s_and_saveexec_b64 s[28:29], s[40:41]
	s_cbranch_execz .LBB2_672
; %bb.671:                              ;   in Loop: Header=BB2_495 Depth=2
	flat_store_dword v[24:25], v28
.LBB2_672:                              ;   in Loop: Header=BB2_495 Depth=2
	s_or_b64 exec, exec, s[28:29]
	v_and_b32_e32 v0, 48, v60
	v_cmp_ne_u32_e32 vcc, 0, v0
	s_and_saveexec_b64 s[28:29], vcc
	s_cbranch_execz .LBB2_494
; %bb.673:                              ;   in Loop: Header=BB2_495 Depth=2
	v_add_co_u32_e32 v38, vcc, 2, v38
	v_addc_co_u32_e32 v39, vcc, 0, v39, vcc
	flat_store_dwordx2 v[20:21], v[38:39]
	s_branch .LBB2_494
.LBB2_674:                              ;   in Loop: Header=BB2_47 Depth=1
	s_or_b64 exec, exec, s[76:77]
	v_cmp_gt_i32_e32 vcc, 2, v0
	s_and_saveexec_b64 s[40:41], vcc
	s_cbranch_execz .LBB2_750
.LBB2_675:                              ;   in Loop: Header=BB2_47 Depth=1
	v_cmp_eq_u32_e64 s[76:77], 0, v0
	s_mov_b64 s[42:43], 0
	s_branch .LBB2_677
.LBB2_676:                              ;   in Loop: Header=BB2_677 Depth=2
	s_or_b64 exec, exec, s[28:29]
	v_add_u32_e32 v54, v52, v54
	s_mov_b64 s[76:77], 0
	s_andn2_b64 exec, exec, s[42:43]
	s_cbranch_execz .LBB2_751
.LBB2_677:                              ;   Parent Loop BB2_47 Depth=1
                                        ; =>  This Loop Header: Depth=2
                                        ;       Child Loop BB2_683 Depth 3
                                        ;       Child Loop BB2_711 Depth 3
	;; [unrolled: 1-line block ×3, first 2 shown]
	v_sub_u32_e32 v0, v3, v54
	v_min_i32_e32 v52, v52, v0
	v_and_b32_e32 v0, 12, v60
	v_cmp_ne_u32_e32 vcc, 0, v0
	s_and_saveexec_b64 s[78:79], vcc
	s_cbranch_execz .LBB2_703
; %bb.678:                              ;   in Loop: Header=BB2_677 Depth=2
	v_and_b32_e32 v48, 8, v60
	s_waitcnt vmcnt(0) lgkmcnt(0)
	v_add_co_u32_e32 v10, vcc, v26, v48
	v_addc_co_u32_e32 v11, vcc, 0, v27, vcc
	v_add_co_u32_e32 v8, vcc, 2, v38
	v_addc_co_u32_e32 v9, vcc, 0, v39, vcc
	v_cmp_lt_u64_e32 vcc, v[10:11], v[8:9]
	s_and_saveexec_b64 s[88:89], vcc
	s_cbranch_execz .LBB2_690
; %bb.679:                              ;   in Loop: Header=BB2_677 Depth=2
	v_and_b32_e32 v0, 64, v60
	s_mov_b32 s75, 0
	v_cmp_eq_u32_e32 vcc, 0, v0
	s_mov_b64 s[90:91], 0
                                        ; implicit-def: $sgpr92_sgpr93
                                        ; implicit-def: $sgpr94_sgpr95
                                        ; implicit-def: $sgpr30_sgpr31
	s_branch .LBB2_683
.LBB2_680:                              ;   in Loop: Header=BB2_683 Depth=3
	s_waitcnt vmcnt(0) lgkmcnt(0)
	v_add_co_u32_e64 v10, s[28:29], v26, v48
	v_addc_co_u32_e64 v11, s[28:29], 0, v27, s[28:29]
	v_cmp_ge_u64_e64 s[28:29], v[10:11], v[8:9]
	s_or_b64 s[38:39], s[38:39], exec
	s_orn2_b64 s[36:37], s[28:29], exec
.LBB2_681:                              ;   in Loop: Header=BB2_683 Depth=3
	s_or_b64 exec, exec, s[50:51]
	s_andn2_b64 s[28:29], s[30:31], exec
	s_and_b64 s[30:31], s[38:39], exec
	s_or_b64 s[30:31], s[28:29], s[30:31]
	s_andn2_b64 s[28:29], s[94:95], exec
	s_and_b64 s[94:95], s[36:37], exec
	s_or_b64 s[94:95], s[28:29], s[94:95]
.LBB2_682:                              ;   in Loop: Header=BB2_683 Depth=3
	s_or_b64 exec, exec, s[34:35]
	s_and_b64 s[28:29], exec, s[94:95]
	s_or_b64 s[90:91], s[28:29], s[90:91]
	s_andn2_b64 s[28:29], s[92:93], exec
	s_and_b64 s[92:93], s[30:31], exec
	s_or_b64 s[92:93], s[28:29], s[92:93]
	s_andn2_b64 exec, exec, s[90:91]
	s_cbranch_execz .LBB2_687
.LBB2_683:                              ;   Parent Loop BB2_47 Depth=1
                                        ;     Parent Loop BB2_677 Depth=2
                                        ; =>    This Inner Loop Header: Depth=3
	s_sleep 1
	s_waitcnt vmcnt(0) lgkmcnt(0)
	flat_load_dwordx2 v[26:27], v[20:21] glc
	s_or_b64 s[30:31], s[30:31], exec
	s_or_b64 s[94:95], s[94:95], exec
                                        ; implicit-def: $vgpr0
	s_and_saveexec_b64 s[34:35], vcc
	s_cbranch_execz .LBB2_682
; %bb.684:                              ;   in Loop: Header=BB2_683 Depth=3
	s_cmpk_lt_i32 s75, 0x270f
	s_cselect_b64 s[48:49], -1, 0
	s_cmpk_gt_i32 s75, 0x270e
	s_mov_b64 s[36:37], -1
	s_cbranch_scc0 .LBB2_686
; %bb.685:                              ;   in Loop: Header=BB2_683 Depth=3
	s_trap 2
	ds_read_b64 v[10:11], v0
	s_andn2_b64 s[48:49], s[48:49], exec
	s_mov_b32 s75, 0
	s_mov_b64 s[38:39], 0
	s_waitcnt vmcnt(0) lgkmcnt(0)
	flat_load_dword v0, v[10:11] glc
	s_waitcnt vmcnt(0) lgkmcnt(0)
	buffer_wbinvl1_vol
	v_cmp_eq_u32_e64 s[28:29], 0, v0
	s_and_b64 s[28:29], s[28:29], exec
	s_or_b64 s[48:49], s[48:49], s[28:29]
	s_and_saveexec_b64 s[50:51], s[48:49]
	s_cbranch_execz .LBB2_681
	s_branch .LBB2_680
.LBB2_686:                              ;   in Loop: Header=BB2_683 Depth=3
	s_add_i32 s75, s75, 1
	s_mov_b64 s[38:39], -1
                                        ; implicit-def: $vgpr0
	s_and_saveexec_b64 s[50:51], s[48:49]
	s_cbranch_execz .LBB2_681
	s_branch .LBB2_680
.LBB2_687:                              ;   in Loop: Header=BB2_677 Depth=2
	s_or_b64 exec, exec, s[90:91]
	s_xor_b64 s[28:29], s[92:93], -1
	s_and_saveexec_b64 s[90:91], s[28:29]
	s_xor_b64 s[28:29], exec, s[90:91]
	s_cbranch_execz .LBB2_689
; %bb.688:                              ;   in Loop: Header=BB2_677 Depth=2
	v_or_b32_e32 v60, 64, v60
	s_waitcnt lgkmcnt(0)
	ds_write_b32 v0, v0
	s_trap 2
.LBB2_689:                              ;   in Loop: Header=BB2_677 Depth=2
	s_or_b64 exec, exec, s[28:29]
.LBB2_690:                              ;   in Loop: Header=BB2_677 Depth=2
	s_or_b64 exec, exec, s[88:89]
	v_and_b32_e32 v0, 0x108, v60
	v_cmp_ne_u32_e32 vcc, s54, v0
	;;#ASMSTART
	s_wakeup
	;;#ASMEND
                                        ; implicit-def: $vgpr10_vgpr11
	s_and_saveexec_b64 s[28:29], vcc
	s_xor_b64 s[28:29], exec, s[28:29]
; %bb.691:                              ;   in Loop: Header=BB2_677 Depth=2
	v_and_b32_e32 v10, 7, v38
	v_mov_b32_e32 v11, v2
                                        ; implicit-def: $vgpr38_vgpr39
; %bb.692:                              ;   in Loop: Header=BB2_677 Depth=2
	s_andn2_saveexec_b64 s[28:29], s[28:29]
	s_cbranch_execz .LBB2_694
; %bb.693:                              ;   in Loop: Header=BB2_677 Depth=2
	v_and_b32_e32 v10, 7, v38
	v_mad_u64_u32 v[14:15], s[88:89], v10, 24, v[34:35]
	v_ashrrev_i32_e32 v53, 31, v52
	v_lshlrev_b64 v[16:17], 2, v[52:53]
	v_mov_b32_e32 v11, v2
	flat_store_dwordx2 v[14:15], v[16:17] offset:8
.LBB2_694:                              ;   in Loop: Header=BB2_677 Depth=2
	s_or_b64 exec, exec, s[28:29]
	v_and_b32_e32 v0, 0x100, v60
	v_cmp_ne_u32_e32 vcc, 0, v0
	s_mov_b64 s[28:29], -1
                                        ; implicit-def: $vgpr38_vgpr39
	s_and_saveexec_b64 s[88:89], vcc
	s_cbranch_execz .LBB2_698
; %bb.695:                              ;   in Loop: Header=BB2_677 Depth=2
	v_mad_u64_u32 v[40:41], s[28:29], v10, 24, v[34:35]
                                        ; implicit-def: $vgpr38_vgpr39
	v_mov_b32_e32 v0, v41
	v_mad_u64_u32 v[14:15], s[28:29], v11, 24, v[0:1]
	v_mov_b32_e32 v41, v14
	flat_load_dword v0, v[40:41]
	s_waitcnt vmcnt(0) lgkmcnt(0)
	v_cmp_ne_u32_e32 vcc, 1, v0
	v_cmp_eq_u32_e64 s[28:29], 1, v0
	s_and_saveexec_b64 s[90:91], s[28:29]
	s_cbranch_execz .LBB2_697
; %bb.696:                              ;   in Loop: Header=BB2_677 Depth=2
	flat_load_dword v14, v[40:41] offset:4 glc
	s_waitcnt vmcnt(0) lgkmcnt(0)
	v_ashrrev_i32_e32 v15, 31, v14
	v_lshrrev_b64 v[38:39], 2, v[14:15]
.LBB2_697:                              ;   in Loop: Header=BB2_677 Depth=2
	s_or_b64 exec, exec, s[90:91]
	s_orn2_b64 s[28:29], vcc, exec
.LBB2_698:                              ;   in Loop: Header=BB2_677 Depth=2
	s_or_b64 exec, exec, s[88:89]
	s_and_saveexec_b64 s[88:89], s[28:29]
	s_cbranch_execz .LBB2_700
; %bb.699:                              ;   in Loop: Header=BB2_677 Depth=2
	v_mul_lo_u32 v0, v11, v61
	v_mul_lo_u32 v11, v10, v57
	v_mad_u64_u32 v[38:39], s[28:29], v10, v61, 0
	v_add3_u32 v39, v39, v11, v0
.LBB2_700:                              ;   in Loop: Header=BB2_677 Depth=2
	s_or_b64 exec, exec, s[88:89]
	v_lshlrev_b64 v[10:11], 2, v[38:39]
	v_cmp_eq_u32_e32 vcc, 0, v48
	v_cndmask_b32_e32 v0, v56, v30, vcc
	v_add_co_u32_e32 v10, vcc, v6, v10
	v_addc_co_u32_e32 v11, vcc, v7, v11, vcc
	v_add_u32_e32 v0, v0, v0
	ds_write_b64 v0, v[10:11] offset:584
	v_and_b32_e32 v0, 0x2000, v60
	v_cmp_ne_u32_e32 vcc, 0, v0
	s_and_saveexec_b64 s[28:29], vcc
	s_cbranch_execz .LBB2_702
; %bb.701:                              ;   in Loop: Header=BB2_677 Depth=2
	ds_read_b64 v[10:11], v0 offset:872
	s_waitcnt lgkmcnt(0)
	v_add_co_u32_e32 v10, vcc, 1, v10
	v_addc_co_u32_e32 v11, vcc, 0, v11, vcc
	ds_write_b64 v0, v[10:11] offset:872
.LBB2_702:                              ;   in Loop: Header=BB2_677 Depth=2
	s_or_b64 exec, exec, s[28:29]
	v_mov_b32_e32 v39, v9
	v_mov_b32_e32 v38, v8
.LBB2_703:                              ;   in Loop: Header=BB2_677 Depth=2
	s_or_b64 exec, exec, s[78:79]
	s_xor_b64 s[28:29], s[76:77], -1
	s_and_b64 s[28:29], exec, s[28:29]
	s_or_b64 s[42:43], s[28:29], s[42:43]
	s_and_saveexec_b64 s[28:29], s[10:11]
	s_cbranch_execz .LBB2_722
; %bb.704:                              ;   in Loop: Header=BB2_677 Depth=2
	s_and_saveexec_b64 s[76:77], s[56:57]
	s_xor_b64 s[76:77], exec, s[76:77]
	s_cbranch_execz .LBB2_719
; %bb.705:                              ;   in Loop: Header=BB2_677 Depth=2
	s_and_saveexec_b64 s[78:79], s[16:17]
	s_cbranch_execz .LBB2_718
; %bb.706:                              ;   in Loop: Header=BB2_677 Depth=2
	s_mov_b64 s[90:91], exec
	v_mbcnt_lo_u32_b32 v0, s90, 0
	v_mbcnt_hi_u32_b32 v0, s91, v0
	v_cmp_eq_u32_e32 vcc, 0, v0
	s_waitcnt vmcnt(0) lgkmcnt(0)
	buffer_wbinvl1_vol
	s_and_saveexec_b64 s[88:89], vcc
	s_cbranch_execz .LBB2_708
; %bb.707:                              ;   in Loop: Header=BB2_677 Depth=2
	s_bcnt1_i32_b64 s75, s[90:91]
	v_mov_b32_e32 v8, s75
	v_mov_b32_e32 v9, v2
	ds_add_u64 v0, v[8:9]
	s_trap 2
.LBB2_708:                              ;   in Loop: Header=BB2_677 Depth=2
	s_or_b64 exec, exec, s[88:89]
	s_trap 2
	ds_read_b64 v[8:9], v0
	s_waitcnt lgkmcnt(0)
	v_add_co_u32_e32 v12, vcc, v12, v62
	v_addc_co_u32_e32 v13, vcc, 0, v13, vcc
	v_cmp_lt_u64_e32 vcc, v[8:9], v[12:13]
	s_and_saveexec_b64 s[88:89], vcc
	s_cbranch_execz .LBB2_717
; %bb.709:                              ;   in Loop: Header=BB2_677 Depth=2
	s_mov_b32 s75, 0
	s_mov_b64 s[90:91], 0
                                        ; implicit-def: $sgpr92_sgpr93
                                        ; implicit-def: $sgpr94_sgpr95
	s_branch .LBB2_711
.LBB2_710:                              ;   in Loop: Header=BB2_711 Depth=3
	s_or_b64 exec, exec, s[34:35]
	s_and_b64 vcc, exec, vcc
	s_or_b64 s[90:91], vcc, s[90:91]
	s_andn2_b64 s[92:93], s[92:93], exec
	s_and_b64 vcc, s[94:95], exec
	s_or_b64 s[92:93], s[92:93], vcc
	s_andn2_b64 exec, exec, s[90:91]
	s_cbranch_execz .LBB2_715
.LBB2_711:                              ;   Parent Loop BB2_47 Depth=1
                                        ;     Parent Loop BB2_677 Depth=2
                                        ; =>    This Inner Loop Header: Depth=3
	s_add_i32 s75, s75, 1
	s_cmpk_lg_i32 s75, 0x2710
	s_cselect_b64 s[30:31], -1, 0
	s_and_b64 vcc, exec, s[30:31]
	s_cbranch_vccz .LBB2_713
; %bb.712:                              ;   in Loop: Header=BB2_711 Depth=3
	s_mov_b64 vcc, -1
	s_or_b64 s[94:95], s[94:95], exec
	s_and_saveexec_b64 s[34:35], s[30:31]
	s_cbranch_execz .LBB2_710
	s_branch .LBB2_714
.LBB2_713:                              ;   in Loop: Header=BB2_711 Depth=3
	s_trap 2
	ds_read_b64 v[8:9], v0
	s_andn2_b64 s[30:31], s[30:31], exec
	s_mov_b32 s75, 0
	s_waitcnt lgkmcnt(0)
	flat_load_dword v0, v[8:9] glc
	s_waitcnt vmcnt(0) lgkmcnt(0)
	buffer_wbinvl1_vol
	v_cmp_eq_u32_e32 vcc, 0, v0
	s_and_b64 vcc, vcc, exec
	s_or_b64 s[30:31], s[30:31], vcc
	s_mov_b64 vcc, -1
	s_or_b64 s[94:95], s[94:95], exec
	s_and_saveexec_b64 s[34:35], s[30:31]
	s_cbranch_execz .LBB2_710
.LBB2_714:                              ;   in Loop: Header=BB2_711 Depth=3
	s_sleep 1
	s_trap 2
	ds_read_b64 v[8:9], v0
	s_waitcnt lgkmcnt(0)
	s_andn2_b64 s[94:95], s[94:95], exec
	v_cmp_ge_u64_e32 vcc, v[8:9], v[12:13]
	s_orn2_b64 vcc, vcc, exec
	s_branch .LBB2_710
.LBB2_715:                              ;   in Loop: Header=BB2_677 Depth=2
	s_or_b64 exec, exec, s[90:91]
	s_and_saveexec_b64 s[90:91], s[92:93]
	s_xor_b64 s[90:91], exec, s[90:91]
	s_cbranch_execz .LBB2_717
; %bb.716:                              ;   in Loop: Header=BB2_677 Depth=2
	ds_write_b32 v0, v28
	s_trap 2
.LBB2_717:                              ;   in Loop: Header=BB2_677 Depth=2
	s_or_b64 exec, exec, s[88:89]
	;;#ASMSTART
	s_wakeup
	;;#ASMEND
.LBB2_718:                              ;   in Loop: Header=BB2_677 Depth=2
	s_or_b64 exec, exec, s[78:79]
.LBB2_719:                              ;   in Loop: Header=BB2_677 Depth=2
	s_andn2_saveexec_b64 s[76:77], s[76:77]
	s_cbranch_execz .LBB2_721
; %bb.720:                              ;   in Loop: Header=BB2_677 Depth=2
	s_waitcnt vmcnt(0) lgkmcnt(0)
	buffer_wbinvl1_vol
	s_barrier
.LBB2_721:                              ;   in Loop: Header=BB2_677 Depth=2
	s_or_b64 exec, exec, s[76:77]
.LBB2_722:                              ;   in Loop: Header=BB2_677 Depth=2
	s_or_b64 exec, exec, s[28:29]
	v_and_b32_e32 v0, 16, v60
	s_and_saveexec_b64 s[28:29], s[24:25]
	s_xor_b64 s[28:29], exec, s[28:29]
	s_cbranch_execz .LBB2_726
; %bb.723:                              ;   in Loop: Header=BB2_677 Depth=2
	s_trap 2
	ds_read_b32 v0, v0
	v_cmp_lt_i32_e32 vcc, 0, v52
	s_waitcnt vmcnt(0)
	v_and_b32_e32 v8, 16, v60
	s_waitcnt lgkmcnt(0)
	v_readfirstlane_b32 s75, v0
	s_cmp_eq_u32 s75, 0
	s_cselect_b64 s[76:77], -1, 0
	s_and_b64 s[76:77], vcc, s[76:77]
	v_cmp_ne_u32_e32 vcc, 0, v8
	v_and_b32_e32 v0, 16, v60
	s_and_b64 s[78:79], vcc, s[76:77]
	s_and_saveexec_b64 s[76:77], s[78:79]
	s_cbranch_execz .LBB2_725
; %bb.724:                              ;   in Loop: Header=BB2_677 Depth=2
	v_mov_b32_e32 v0, 1
	buffer_wbinvl1_vol
.LBB2_725:                              ;   in Loop: Header=BB2_677 Depth=2
	s_or_b64 exec, exec, s[76:77]
.LBB2_726:                              ;   in Loop: Header=BB2_677 Depth=2
	s_andn2_saveexec_b64 s[28:29], s[28:29]
	s_cbranch_execz .LBB2_745
; %bb.727:                              ;   in Loop: Header=BB2_677 Depth=2
	s_and_saveexec_b64 s[76:77], s[56:57]
	s_xor_b64 s[76:77], exec, s[76:77]
	s_cbranch_execz .LBB2_742
; %bb.728:                              ;   in Loop: Header=BB2_677 Depth=2
	s_and_saveexec_b64 s[78:79], s[16:17]
	s_cbranch_execz .LBB2_741
; %bb.729:                              ;   in Loop: Header=BB2_677 Depth=2
	s_mov_b64 s[90:91], exec
	s_waitcnt vmcnt(0)
	v_mbcnt_lo_u32_b32 v8, s90, 0
	v_mbcnt_hi_u32_b32 v8, s91, v8
	v_cmp_eq_u32_e32 vcc, 0, v8
	;;#ASMSTART
	s_waitcnt lgkmcnt(0) vmcnt(0)
	;;#ASMEND
	s_and_saveexec_b64 s[88:89], vcc
	s_cbranch_execz .LBB2_731
; %bb.730:                              ;   in Loop: Header=BB2_677 Depth=2
	s_bcnt1_i32_b64 s75, s[90:91]
	v_mov_b32_e32 v8, s75
	v_mov_b32_e32 v9, v2
	s_waitcnt lgkmcnt(0)
	ds_add_u64 v0, v[8:9]
	s_trap 2
.LBB2_731:                              ;   in Loop: Header=BB2_677 Depth=2
	s_or_b64 exec, exec, s[88:89]
	s_trap 2
	ds_read_b64 v[8:9], v0
	s_waitcnt lgkmcnt(0)
	v_add_co_u32_e32 v12, vcc, v12, v62
	v_addc_co_u32_e32 v13, vcc, 0, v13, vcc
	v_cmp_lt_u64_e32 vcc, v[8:9], v[12:13]
	s_and_saveexec_b64 s[88:89], vcc
	s_cbranch_execz .LBB2_740
; %bb.732:                              ;   in Loop: Header=BB2_677 Depth=2
	s_mov_b32 s75, 0
	s_mov_b64 s[90:91], 0
                                        ; implicit-def: $sgpr92_sgpr93
                                        ; implicit-def: $sgpr94_sgpr95
	s_branch .LBB2_734
.LBB2_733:                              ;   in Loop: Header=BB2_734 Depth=3
	s_or_b64 exec, exec, s[34:35]
	s_and_b64 vcc, exec, vcc
	s_or_b64 s[90:91], vcc, s[90:91]
	s_andn2_b64 s[92:93], s[92:93], exec
	s_and_b64 vcc, s[94:95], exec
	s_or_b64 s[92:93], s[92:93], vcc
	s_andn2_b64 exec, exec, s[90:91]
	s_cbranch_execz .LBB2_738
.LBB2_734:                              ;   Parent Loop BB2_47 Depth=1
                                        ;     Parent Loop BB2_677 Depth=2
                                        ; =>    This Inner Loop Header: Depth=3
	s_add_i32 s75, s75, 1
	s_cmpk_lg_i32 s75, 0x2710
	s_cselect_b64 s[30:31], -1, 0
	s_and_b64 vcc, exec, s[30:31]
	s_cbranch_vccz .LBB2_736
; %bb.735:                              ;   in Loop: Header=BB2_734 Depth=3
	s_mov_b64 vcc, -1
	s_or_b64 s[94:95], s[94:95], exec
	s_and_saveexec_b64 s[34:35], s[30:31]
	s_cbranch_execz .LBB2_733
	s_branch .LBB2_737
.LBB2_736:                              ;   in Loop: Header=BB2_734 Depth=3
	s_trap 2
	ds_read_b64 v[8:9], v0
	s_andn2_b64 s[30:31], s[30:31], exec
	s_mov_b32 s75, 0
	s_waitcnt lgkmcnt(0)
	flat_load_dword v8, v[8:9] glc
	s_waitcnt vmcnt(0) lgkmcnt(0)
	buffer_wbinvl1_vol
	v_cmp_eq_u32_e32 vcc, 0, v8
	s_and_b64 vcc, vcc, exec
	s_or_b64 s[30:31], s[30:31], vcc
	s_mov_b64 vcc, -1
	s_or_b64 s[94:95], s[94:95], exec
	s_and_saveexec_b64 s[34:35], s[30:31]
	s_cbranch_execz .LBB2_733
.LBB2_737:                              ;   in Loop: Header=BB2_734 Depth=3
	s_sleep 1
	s_trap 2
	ds_read_b64 v[8:9], v0
	s_waitcnt lgkmcnt(0)
	s_andn2_b64 s[94:95], s[94:95], exec
	v_cmp_ge_u64_e32 vcc, v[8:9], v[12:13]
	s_orn2_b64 vcc, vcc, exec
	s_branch .LBB2_733
.LBB2_738:                              ;   in Loop: Header=BB2_677 Depth=2
	s_or_b64 exec, exec, s[90:91]
	s_and_saveexec_b64 s[90:91], s[92:93]
	s_xor_b64 s[90:91], exec, s[90:91]
	s_cbranch_execz .LBB2_740
; %bb.739:                              ;   in Loop: Header=BB2_677 Depth=2
	ds_write_b32 v0, v28
	s_trap 2
.LBB2_740:                              ;   in Loop: Header=BB2_677 Depth=2
	s_or_b64 exec, exec, s[88:89]
	;;#ASMSTART
	s_wakeup
	;;#ASMEND
.LBB2_741:                              ;   in Loop: Header=BB2_677 Depth=2
	s_or_b64 exec, exec, s[78:79]
.LBB2_742:                              ;   in Loop: Header=BB2_677 Depth=2
	s_andn2_saveexec_b64 s[76:77], s[76:77]
	s_cbranch_execz .LBB2_744
; %bb.743:                              ;   in Loop: Header=BB2_677 Depth=2
	;;#ASMSTART
	s_waitcnt lgkmcnt(0) vmcnt(0)
	;;#ASMEND
	s_waitcnt vmcnt(0) lgkmcnt(0)
	s_barrier
.LBB2_744:                              ;   in Loop: Header=BB2_677 Depth=2
	s_or_b64 exec, exec, s[76:77]
.LBB2_745:                              ;   in Loop: Header=BB2_677 Depth=2
	s_or_b64 exec, exec, s[28:29]
	v_cmp_ne_u32_e32 vcc, 0, v0
	s_xor_b64 s[28:29], s[12:13], -1
	s_and_b64 s[76:77], vcc, s[28:29]
	s_and_saveexec_b64 s[28:29], s[76:77]
	s_cbranch_execz .LBB2_747
; %bb.746:                              ;   in Loop: Header=BB2_677 Depth=2
	flat_store_dword v[24:25], v28
.LBB2_747:                              ;   in Loop: Header=BB2_677 Depth=2
	s_or_b64 exec, exec, s[28:29]
	v_and_b32_e32 v0, 48, v60
	v_cmp_ne_u32_e32 vcc, 0, v0
	s_and_saveexec_b64 s[28:29], vcc
	s_cbranch_execz .LBB2_676
; %bb.748:                              ;   in Loop: Header=BB2_677 Depth=2
	v_add_co_u32_e32 v38, vcc, 2, v38
	v_addc_co_u32_e32 v39, vcc, 0, v39, vcc
	flat_store_dwordx2 v[20:21], v[38:39]
	s_branch .LBB2_676
.LBB2_749:                              ;   in Loop: Header=BB2_47 Depth=1
	s_or_b64 exec, exec, s[78:79]
	s_or_b64 exec, exec, s[76:77]
	v_cmp_gt_i32_e32 vcc, 2, v0
	s_and_saveexec_b64 s[40:41], vcc
	s_cbranch_execnz .LBB2_675
.LBB2_750:                              ;   in Loop: Header=BB2_47 Depth=1
	s_or_b64 exec, exec, s[40:41]
	s_and_b64 vcc, exec, s[26:27]
	s_cbranch_vccz .LBB2_752
	s_branch .LBB2_1014
.LBB2_751:                              ;   in Loop: Header=BB2_47 Depth=1
	s_or_b64 exec, exec, s[42:43]
	s_or_b64 exec, exec, s[40:41]
	s_and_b64 vcc, exec, s[26:27]
	s_cbranch_vccnz .LBB2_1014
.LBB2_752:                              ;   in Loop: Header=BB2_47 Depth=1
	s_mov_b32 s75, 1
.LBB2_753:                              ;   Parent Loop BB2_47 Depth=1
                                        ; =>  This Loop Header: Depth=2
                                        ;       Child Loop BB2_756 Depth 3
                                        ;         Child Loop BB2_764 Depth 4
                                        ;         Child Loop BB2_792 Depth 4
	;; [unrolled: 1-line block ×4, first 2 shown]
                                        ;           Child Loop BB2_835 Depth 5
                                        ;         Child Loop BB2_841 Depth 4
                                        ;           Child Loop BB2_842 Depth 5
                                        ;         Child Loop BB2_851 Depth 4
                                        ;         Child Loop BB2_856 Depth 4
                                        ;           Child Loop BB2_857 Depth 5
                                        ;         Child Loop BB2_869 Depth 4
                                        ;         Child Loop BB2_874 Depth 4
	;; [unrolled: 1-line block ×6, first 2 shown]
                                        ;       Child Loop BB2_938 Depth 3
                                        ;         Child Loop BB2_944 Depth 4
                                        ;         Child Loop BB2_972 Depth 4
	;; [unrolled: 1-line block ×3, first 2 shown]
	buffer_load_dword v14, off, s[0:3], s33 offset:116 ; 4-byte Folded Reload
	buffer_load_dword v15, off, s[0:3], s33 offset:120 ; 4-byte Folded Reload
	;; [unrolled: 1-line block ×4, first 2 shown]
	s_sub_i32 s26, s65, s75
	s_cmp_ge_i32 s26, s52
	s_cselect_b32 s27, s52, 0
	s_sub_i32 s26, s26, s27
	s_ashr_i32 s28, s26, 31
	v_mov_b32_e32 v54, 0
	s_waitcnt vmcnt(0)
	v_mul_lo_u32 v3, v14, s28
	v_mul_lo_u32 v0, v15, s26
	v_mad_u64_u32 v[8:9], s[26:27], v14, s26, 0
	v_add3_u32 v9, v9, v3, v0
	v_sub_co_u32_e32 v10, vcc, v10, v8
	v_subb_co_u32_e32 v11, vcc, v11, v9, vcc
	v_cmp_lt_i64_e32 vcc, v[14:15], v[10:11]
	v_cndmask_b32_e32 v0, v10, v14, vcc
	v_max_i32_e32 v3, 0, v0
	v_add_u32_e32 v10, 31, v3
	v_lshrrev_b32_e32 v10, 1, v10
	v_and_b32_e32 v10, 0x3ffffff0, v10
	v_cmp_lt_i32_e32 vcc, 0, v0
	v_max_i32_e32 v52, s68, v10
	s_and_b64 s[26:27], s[72:73], vcc
	v_mov_b32_e32 v0, 0
	s_and_saveexec_b64 s[42:43], s[26:27]
	s_cbranch_execz .LBB2_935
; %bb.754:                              ;   in Loop: Header=BB2_753 Depth=2
	v_add_co_u32_e32 v8, vcc, v8, v22
	v_addc_co_u32_e32 v9, vcc, v9, v23, vcc
	v_lshlrev_b64 v[40:41], 2, v[8:9]
	s_mov_b32 s50, 1
	s_mov_b64 s[78:79], -1
	v_mov_b32_e32 v54, 0
	s_mov_b64 s[76:77], 0
	s_branch .LBB2_756
.LBB2_755:                              ;   in Loop: Header=BB2_756 Depth=3
	s_or_b64 exec, exec, s[26:27]
	v_add_u32_e32 v54, v52, v54
	v_cmp_ge_i32_e32 vcc, v54, v3
	s_xor_b64 s[26:27], s[78:79], -1
	s_or_b64 s[26:27], s[26:27], vcc
	s_and_b64 s[26:27], exec, s[26:27]
	s_or_b64 s[76:77], s[26:27], s[76:77]
	s_mov_b64 s[78:79], 0
	v_mov_b32_e32 v0, s50
	s_mov_b32 s50, 2
	s_andn2_b64 exec, exec, s[76:77]
	s_cbranch_execz .LBB2_1010
.LBB2_756:                              ;   Parent Loop BB2_47 Depth=1
                                        ;     Parent Loop BB2_753 Depth=2
                                        ; =>    This Loop Header: Depth=3
                                        ;         Child Loop BB2_764 Depth 4
                                        ;         Child Loop BB2_792 Depth 4
	;; [unrolled: 1-line block ×4, first 2 shown]
                                        ;           Child Loop BB2_835 Depth 5
                                        ;         Child Loop BB2_841 Depth 4
                                        ;           Child Loop BB2_842 Depth 5
                                        ;         Child Loop BB2_851 Depth 4
                                        ;         Child Loop BB2_856 Depth 4
                                        ;           Child Loop BB2_857 Depth 5
                                        ;         Child Loop BB2_869 Depth 4
                                        ;         Child Loop BB2_874 Depth 4
	;; [unrolled: 1-line block ×6, first 2 shown]
	s_and_saveexec_b64 s[26:27], s[4:5]
	s_cbranch_execz .LBB2_758
; %bb.757:                              ;   in Loop: Header=BB2_756 Depth=3
	s_trap 2
	s_waitcnt vmcnt(0)
	ds_read_b128 v[8:11], v0
	v_ashrrev_i32_e32 v55, 31, v54
	s_waitcnt lgkmcnt(0)
	v_add_co_u32_e32 v0, vcc, v8, v40
	v_addc_co_u32_e32 v15, vcc, v9, v41, vcc
	v_lshlrev_b64 v[8:9], 2, v[54:55]
	v_add_co_u32_e32 v14, vcc, v0, v8
	v_addc_co_u32_e32 v15, vcc, v15, v9, vcc
	ds_write_b64 v0, v[14:15]
	v_add_co_u32_e32 v0, vcc, v10, v40
	v_addc_co_u32_e32 v14, vcc, v11, v41, vcc
	v_add_co_u32_e32 v0, vcc, v0, v8
	v_addc_co_u32_e32 v8, vcc, v14, v9, vcc
	v_cmp_ne_u64_e32 vcc, 0, v[10:11]
	v_cndmask_b32_e32 v9, 0, v8, vcc
	v_cndmask_b32_e32 v8, 0, v0, vcc
	ds_write_b64 v0, v[8:9]
.LBB2_758:                              ;   in Loop: Header=BB2_756 Depth=3
	s_or_b64 exec, exec, s[26:27]
	v_sub_u32_e32 v0, v3, v54
	v_min_i32_e32 v52, v52, v0
	v_and_b32_e32 v0, 12, v60
	v_cmp_ne_u32_e32 vcc, 0, v0
	s_and_saveexec_b64 s[28:29], vcc
	s_cbranch_execz .LBB2_784
; %bb.759:                              ;   in Loop: Header=BB2_756 Depth=3
	v_and_b32_e32 v48, 8, v60
	s_waitcnt vmcnt(0) lgkmcnt(0)
	v_add_co_u32_e32 v10, vcc, v26, v48
	v_addc_co_u32_e32 v11, vcc, 0, v27, vcc
	v_add_co_u32_e32 v8, vcc, 2, v38
	v_addc_co_u32_e32 v9, vcc, 0, v39, vcc
	v_cmp_lt_u64_e32 vcc, v[10:11], v[8:9]
	s_and_saveexec_b64 s[40:41], vcc
	s_cbranch_execz .LBB2_771
; %bb.760:                              ;   in Loop: Header=BB2_756 Depth=3
	v_and_b32_e32 v0, 64, v60
	s_mov_b32 s51, 0
	v_cmp_eq_u32_e32 vcc, 0, v0
	s_mov_b64 s[88:89], 0
                                        ; implicit-def: $sgpr90_sgpr91
                                        ; implicit-def: $sgpr92_sgpr93
                                        ; implicit-def: $sgpr94_sgpr95
	s_branch .LBB2_764
.LBB2_761:                              ;   in Loop: Header=BB2_764 Depth=4
	s_waitcnt vmcnt(0) lgkmcnt(0)
	v_add_co_u32_e64 v10, s[26:27], v26, v48
	v_addc_co_u32_e64 v11, s[26:27], 0, v27, s[26:27]
	v_cmp_ge_u64_e64 s[26:27], v[10:11], v[8:9]
	s_or_b64 s[36:37], s[36:37], exec
	s_orn2_b64 s[34:35], s[26:27], exec
.LBB2_762:                              ;   in Loop: Header=BB2_764 Depth=4
	s_or_b64 exec, exec, s[48:49]
	s_andn2_b64 s[26:27], s[94:95], exec
	s_and_b64 s[94:95], s[36:37], exec
	s_or_b64 s[94:95], s[26:27], s[94:95]
	s_andn2_b64 s[26:27], s[92:93], exec
	s_and_b64 s[92:93], s[34:35], exec
	s_or_b64 s[92:93], s[26:27], s[92:93]
.LBB2_763:                              ;   in Loop: Header=BB2_764 Depth=4
	s_or_b64 exec, exec, s[30:31]
	s_and_b64 s[26:27], exec, s[92:93]
	s_or_b64 s[88:89], s[26:27], s[88:89]
	s_andn2_b64 s[26:27], s[90:91], exec
	s_and_b64 s[90:91], s[94:95], exec
	s_or_b64 s[90:91], s[26:27], s[90:91]
	s_andn2_b64 exec, exec, s[88:89]
	s_cbranch_execz .LBB2_768
.LBB2_764:                              ;   Parent Loop BB2_47 Depth=1
                                        ;     Parent Loop BB2_753 Depth=2
                                        ;       Parent Loop BB2_756 Depth=3
                                        ; =>      This Inner Loop Header: Depth=4
	s_sleep 1
	s_waitcnt vmcnt(0) lgkmcnt(0)
	flat_load_dwordx2 v[26:27], v[20:21] glc
	s_or_b64 s[94:95], s[94:95], exec
	s_or_b64 s[92:93], s[92:93], exec
                                        ; implicit-def: $vgpr0
	s_and_saveexec_b64 s[30:31], vcc
	s_cbranch_execz .LBB2_763
; %bb.765:                              ;   in Loop: Header=BB2_764 Depth=4
	s_cmpk_lt_i32 s51, 0x270f
	s_cselect_b64 s[38:39], -1, 0
	s_cmpk_gt_i32 s51, 0x270e
	s_mov_b64 s[34:35], -1
	s_cbranch_scc0 .LBB2_767
; %bb.766:                              ;   in Loop: Header=BB2_764 Depth=4
	s_trap 2
	ds_read_b64 v[10:11], v0
	s_andn2_b64 s[38:39], s[38:39], exec
	s_mov_b32 s51, 0
	s_mov_b64 s[36:37], 0
	s_waitcnt vmcnt(0) lgkmcnt(0)
	flat_load_dword v0, v[10:11] glc
	s_waitcnt vmcnt(0) lgkmcnt(0)
	buffer_wbinvl1_vol
	v_cmp_eq_u32_e64 s[26:27], 0, v0
	s_and_b64 s[26:27], s[26:27], exec
	s_or_b64 s[38:39], s[38:39], s[26:27]
	s_and_saveexec_b64 s[48:49], s[38:39]
	s_cbranch_execz .LBB2_762
	s_branch .LBB2_761
.LBB2_767:                              ;   in Loop: Header=BB2_764 Depth=4
	s_add_i32 s51, s51, 1
	s_mov_b64 s[36:37], -1
                                        ; implicit-def: $vgpr0
	s_and_saveexec_b64 s[48:49], s[38:39]
	s_cbranch_execz .LBB2_762
	s_branch .LBB2_761
.LBB2_768:                              ;   in Loop: Header=BB2_756 Depth=3
	s_or_b64 exec, exec, s[88:89]
	s_xor_b64 s[26:27], s[90:91], -1
	s_and_saveexec_b64 s[88:89], s[26:27]
	s_xor_b64 s[26:27], exec, s[88:89]
	s_cbranch_execz .LBB2_770
; %bb.769:                              ;   in Loop: Header=BB2_756 Depth=3
	v_or_b32_e32 v60, 64, v60
	s_waitcnt lgkmcnt(0)
	ds_write_b32 v0, v0
	s_trap 2
.LBB2_770:                              ;   in Loop: Header=BB2_756 Depth=3
	s_or_b64 exec, exec, s[26:27]
.LBB2_771:                              ;   in Loop: Header=BB2_756 Depth=3
	s_or_b64 exec, exec, s[40:41]
	v_and_b32_e32 v0, 0x108, v60
	v_cmp_ne_u32_e32 vcc, s54, v0
	;;#ASMSTART
	s_wakeup
	;;#ASMEND
                                        ; implicit-def: $vgpr10_vgpr11
	s_and_saveexec_b64 s[26:27], vcc
	s_xor_b64 s[26:27], exec, s[26:27]
; %bb.772:                              ;   in Loop: Header=BB2_756 Depth=3
	v_and_b32_e32 v10, 7, v38
	v_mov_b32_e32 v11, v2
                                        ; implicit-def: $vgpr38_vgpr39
; %bb.773:                              ;   in Loop: Header=BB2_756 Depth=3
	s_andn2_saveexec_b64 s[26:27], s[26:27]
	s_cbranch_execz .LBB2_775
; %bb.774:                              ;   in Loop: Header=BB2_756 Depth=3
	v_and_b32_e32 v10, 7, v38
	v_mad_u64_u32 v[14:15], s[40:41], v10, 24, v[34:35]
	v_ashrrev_i32_e32 v53, 31, v52
	v_lshlrev_b64 v[16:17], 2, v[52:53]
	v_mov_b32_e32 v11, v2
	flat_store_dwordx2 v[14:15], v[16:17] offset:8
.LBB2_775:                              ;   in Loop: Header=BB2_756 Depth=3
	s_or_b64 exec, exec, s[26:27]
	v_and_b32_e32 v0, 0x100, v60
	v_cmp_ne_u32_e32 vcc, 0, v0
	s_mov_b64 s[26:27], -1
                                        ; implicit-def: $vgpr38_vgpr39
	s_and_saveexec_b64 s[40:41], vcc
	s_cbranch_execz .LBB2_779
; %bb.776:                              ;   in Loop: Header=BB2_756 Depth=3
	v_mad_u64_u32 v[42:43], s[26:27], v10, 24, v[34:35]
                                        ; implicit-def: $vgpr38_vgpr39
	v_mov_b32_e32 v0, v43
	v_mad_u64_u32 v[14:15], s[26:27], v11, 24, v[0:1]
	v_mov_b32_e32 v43, v14
	flat_load_dword v0, v[42:43]
	s_waitcnt vmcnt(0) lgkmcnt(0)
	v_cmp_ne_u32_e32 vcc, 1, v0
	v_cmp_eq_u32_e64 s[26:27], 1, v0
	s_and_saveexec_b64 s[88:89], s[26:27]
	s_cbranch_execz .LBB2_778
; %bb.777:                              ;   in Loop: Header=BB2_756 Depth=3
	flat_load_dword v14, v[42:43] offset:4 glc
	s_waitcnt vmcnt(0) lgkmcnt(0)
	v_ashrrev_i32_e32 v15, 31, v14
	v_lshrrev_b64 v[38:39], 2, v[14:15]
.LBB2_778:                              ;   in Loop: Header=BB2_756 Depth=3
	s_or_b64 exec, exec, s[88:89]
	s_orn2_b64 s[26:27], vcc, exec
.LBB2_779:                              ;   in Loop: Header=BB2_756 Depth=3
	s_or_b64 exec, exec, s[40:41]
	s_and_saveexec_b64 s[40:41], s[26:27]
	s_cbranch_execz .LBB2_781
; %bb.780:                              ;   in Loop: Header=BB2_756 Depth=3
	v_mul_lo_u32 v0, v11, v61
	v_mul_lo_u32 v11, v10, v57
	v_mad_u64_u32 v[38:39], s[26:27], v10, v61, 0
	v_add3_u32 v39, v39, v11, v0
.LBB2_781:                              ;   in Loop: Header=BB2_756 Depth=3
	s_or_b64 exec, exec, s[40:41]
	v_lshlrev_b64 v[10:11], 2, v[38:39]
	v_cmp_eq_u32_e32 vcc, 0, v48
	v_mov_b32_e32 v0, 0x88
	v_cndmask_b32_e32 v0, v56, v0, vcc
	v_add_co_u32_e32 v10, vcc, v6, v10
	v_addc_co_u32_e32 v11, vcc, v7, v11, vcc
	v_add_u32_e32 v0, v0, v0
	ds_write_b64 v0, v[10:11] offset:584
	v_and_b32_e32 v0, 0x2000, v60
	v_cmp_ne_u32_e32 vcc, 0, v0
	s_and_saveexec_b64 s[26:27], vcc
	s_cbranch_execz .LBB2_783
; %bb.782:                              ;   in Loop: Header=BB2_756 Depth=3
	ds_read_b64 v[10:11], v0 offset:872
	s_waitcnt lgkmcnt(0)
	v_add_co_u32_e32 v10, vcc, 1, v10
	v_addc_co_u32_e32 v11, vcc, 0, v11, vcc
	ds_write_b64 v0, v[10:11] offset:872
.LBB2_783:                              ;   in Loop: Header=BB2_756 Depth=3
	s_or_b64 exec, exec, s[26:27]
	v_mov_b32_e32 v39, v9
	v_mov_b32_e32 v38, v8
.LBB2_784:                              ;   in Loop: Header=BB2_756 Depth=3
	s_or_b64 exec, exec, s[28:29]
	s_and_saveexec_b64 s[26:27], s[10:11]
	s_cbranch_execz .LBB2_803
; %bb.785:                              ;   in Loop: Header=BB2_756 Depth=3
	s_and_saveexec_b64 s[28:29], s[56:57]
	s_xor_b64 s[28:29], exec, s[28:29]
	s_cbranch_execz .LBB2_800
; %bb.786:                              ;   in Loop: Header=BB2_756 Depth=3
	s_and_saveexec_b64 s[40:41], s[16:17]
	s_cbranch_execz .LBB2_799
; %bb.787:                              ;   in Loop: Header=BB2_756 Depth=3
	s_mov_b64 s[90:91], exec
	v_mbcnt_lo_u32_b32 v0, s90, 0
	v_mbcnt_hi_u32_b32 v0, s91, v0
	v_cmp_eq_u32_e32 vcc, 0, v0
	s_waitcnt vmcnt(0) lgkmcnt(0)
	buffer_wbinvl1_vol
	s_and_saveexec_b64 s[88:89], vcc
	s_cbranch_execz .LBB2_789
; %bb.788:                              ;   in Loop: Header=BB2_756 Depth=3
	s_bcnt1_i32_b64 s90, s[90:91]
	v_mov_b32_e32 v8, s90
	v_mov_b32_e32 v9, v2
	ds_add_u64 v0, v[8:9]
	s_trap 2
.LBB2_789:                              ;   in Loop: Header=BB2_756 Depth=3
	s_or_b64 exec, exec, s[88:89]
	s_trap 2
	ds_read_b64 v[8:9], v0
	s_waitcnt lgkmcnt(0)
	v_add_co_u32_e32 v12, vcc, v12, v62
	v_addc_co_u32_e32 v13, vcc, 0, v13, vcc
	v_cmp_lt_u64_e32 vcc, v[8:9], v[12:13]
	s_and_saveexec_b64 s[88:89], vcc
	s_cbranch_execz .LBB2_798
; %bb.790:                              ;   in Loop: Header=BB2_756 Depth=3
	s_mov_b32 s36, 0
	s_mov_b64 s[90:91], 0
                                        ; implicit-def: $sgpr92_sgpr93
                                        ; implicit-def: $sgpr94_sgpr95
	s_branch .LBB2_792
.LBB2_791:                              ;   in Loop: Header=BB2_792 Depth=4
	s_or_b64 exec, exec, s[34:35]
	s_and_b64 vcc, exec, vcc
	s_or_b64 s[90:91], vcc, s[90:91]
	s_andn2_b64 s[92:93], s[92:93], exec
	s_and_b64 vcc, s[94:95], exec
	s_or_b64 s[92:93], s[92:93], vcc
	s_andn2_b64 exec, exec, s[90:91]
	s_cbranch_execz .LBB2_796
.LBB2_792:                              ;   Parent Loop BB2_47 Depth=1
                                        ;     Parent Loop BB2_753 Depth=2
                                        ;       Parent Loop BB2_756 Depth=3
                                        ; =>      This Inner Loop Header: Depth=4
	s_add_i32 s36, s36, 1
	s_cmpk_lg_i32 s36, 0x2710
	s_cselect_b64 s[30:31], -1, 0
	s_and_b64 vcc, exec, s[30:31]
	s_cbranch_vccz .LBB2_794
; %bb.793:                              ;   in Loop: Header=BB2_792 Depth=4
	s_mov_b64 vcc, -1
	s_or_b64 s[94:95], s[94:95], exec
	s_and_saveexec_b64 s[34:35], s[30:31]
	s_cbranch_execz .LBB2_791
	s_branch .LBB2_795
.LBB2_794:                              ;   in Loop: Header=BB2_792 Depth=4
	s_trap 2
	ds_read_b64 v[8:9], v0
	s_andn2_b64 s[30:31], s[30:31], exec
	s_mov_b32 s36, 0
	s_waitcnt lgkmcnt(0)
	flat_load_dword v0, v[8:9] glc
	s_waitcnt vmcnt(0) lgkmcnt(0)
	buffer_wbinvl1_vol
	v_cmp_eq_u32_e32 vcc, 0, v0
	s_and_b64 vcc, vcc, exec
	s_or_b64 s[30:31], s[30:31], vcc
	s_mov_b64 vcc, -1
	s_or_b64 s[94:95], s[94:95], exec
	s_and_saveexec_b64 s[34:35], s[30:31]
	s_cbranch_execz .LBB2_791
.LBB2_795:                              ;   in Loop: Header=BB2_792 Depth=4
	s_sleep 1
	s_trap 2
	ds_read_b64 v[8:9], v0
	s_waitcnt lgkmcnt(0)
	s_andn2_b64 s[94:95], s[94:95], exec
	v_cmp_ge_u64_e32 vcc, v[8:9], v[12:13]
	s_orn2_b64 vcc, vcc, exec
	s_branch .LBB2_791
.LBB2_796:                              ;   in Loop: Header=BB2_756 Depth=3
	s_or_b64 exec, exec, s[90:91]
	s_and_saveexec_b64 s[90:91], s[92:93]
	s_xor_b64 s[90:91], exec, s[90:91]
	s_cbranch_execz .LBB2_798
; %bb.797:                              ;   in Loop: Header=BB2_756 Depth=3
	ds_write_b32 v0, v28
	s_trap 2
.LBB2_798:                              ;   in Loop: Header=BB2_756 Depth=3
	s_or_b64 exec, exec, s[88:89]
	;;#ASMSTART
	s_wakeup
	;;#ASMEND
.LBB2_799:                              ;   in Loop: Header=BB2_756 Depth=3
	s_or_b64 exec, exec, s[40:41]
.LBB2_800:                              ;   in Loop: Header=BB2_756 Depth=3
	s_andn2_saveexec_b64 s[28:29], s[28:29]
	s_cbranch_execz .LBB2_802
; %bb.801:                              ;   in Loop: Header=BB2_756 Depth=3
	s_waitcnt vmcnt(0) lgkmcnt(0)
	buffer_wbinvl1_vol
	s_barrier
.LBB2_802:                              ;   in Loop: Header=BB2_756 Depth=3
	s_or_b64 exec, exec, s[28:29]
.LBB2_803:                              ;   in Loop: Header=BB2_756 Depth=3
	s_or_b64 exec, exec, s[26:27]
	s_trap 2
	ds_read_b32 v0, v0
	s_waitcnt vmcnt(0)
	v_and_b32_e32 v8, 0x4000, v60
	v_cmp_ne_u32_e32 vcc, 0, v8
	s_xor_b64 s[26:27], s[6:7], -1
	s_and_b64 s[28:29], s[26:27], vcc
	s_and_saveexec_b64 s[26:27], s[28:29]
	s_cbranch_execz .LBB2_822
; %bb.804:                              ;   in Loop: Header=BB2_756 Depth=3
	s_and_saveexec_b64 s[28:29], s[56:57]
	s_xor_b64 s[28:29], exec, s[28:29]
	s_cbranch_execz .LBB2_819
; %bb.805:                              ;   in Loop: Header=BB2_756 Depth=3
	s_and_saveexec_b64 s[40:41], s[16:17]
	s_cbranch_execz .LBB2_818
; %bb.806:                              ;   in Loop: Header=BB2_756 Depth=3
	s_mov_b64 s[90:91], exec
	v_mbcnt_lo_u32_b32 v8, s90, 0
	v_mbcnt_hi_u32_b32 v8, s91, v8
	v_cmp_eq_u32_e32 vcc, 0, v8
	s_waitcnt vmcnt(0) lgkmcnt(0)
	buffer_wbinvl1_vol
	s_and_saveexec_b64 s[88:89], vcc
	s_cbranch_execz .LBB2_808
; %bb.807:                              ;   in Loop: Header=BB2_756 Depth=3
	s_bcnt1_i32_b64 s90, s[90:91]
	v_mov_b32_e32 v8, s90
	v_mov_b32_e32 v9, v2
	ds_add_u64 v0, v[8:9]
	s_trap 2
.LBB2_808:                              ;   in Loop: Header=BB2_756 Depth=3
	s_or_b64 exec, exec, s[88:89]
	s_trap 2
	ds_read_b64 v[8:9], v0
	s_waitcnt lgkmcnt(0)
	v_add_co_u32_e32 v12, vcc, v12, v62
	v_addc_co_u32_e32 v13, vcc, 0, v13, vcc
	v_cmp_lt_u64_e32 vcc, v[8:9], v[12:13]
	s_and_saveexec_b64 s[88:89], vcc
	s_cbranch_execz .LBB2_817
; %bb.809:                              ;   in Loop: Header=BB2_756 Depth=3
	s_mov_b32 s36, 0
	s_mov_b64 s[90:91], 0
                                        ; implicit-def: $sgpr92_sgpr93
                                        ; implicit-def: $sgpr94_sgpr95
	s_branch .LBB2_811
.LBB2_810:                              ;   in Loop: Header=BB2_811 Depth=4
	s_or_b64 exec, exec, s[34:35]
	s_and_b64 vcc, exec, vcc
	s_or_b64 s[90:91], vcc, s[90:91]
	s_andn2_b64 s[92:93], s[92:93], exec
	s_and_b64 vcc, s[94:95], exec
	s_or_b64 s[92:93], s[92:93], vcc
	s_andn2_b64 exec, exec, s[90:91]
	s_cbranch_execz .LBB2_815
.LBB2_811:                              ;   Parent Loop BB2_47 Depth=1
                                        ;     Parent Loop BB2_753 Depth=2
                                        ;       Parent Loop BB2_756 Depth=3
                                        ; =>      This Inner Loop Header: Depth=4
	s_add_i32 s36, s36, 1
	s_cmpk_lg_i32 s36, 0x2710
	s_cselect_b64 s[30:31], -1, 0
	s_and_b64 vcc, exec, s[30:31]
	s_cbranch_vccz .LBB2_813
; %bb.812:                              ;   in Loop: Header=BB2_811 Depth=4
	s_mov_b64 vcc, -1
	s_or_b64 s[94:95], s[94:95], exec
	s_and_saveexec_b64 s[34:35], s[30:31]
	s_cbranch_execz .LBB2_810
	s_branch .LBB2_814
.LBB2_813:                              ;   in Loop: Header=BB2_811 Depth=4
	s_trap 2
	ds_read_b64 v[8:9], v0
	s_andn2_b64 s[30:31], s[30:31], exec
	s_mov_b32 s36, 0
	s_waitcnt lgkmcnt(0)
	flat_load_dword v8, v[8:9] glc
	s_waitcnt vmcnt(0) lgkmcnt(0)
	buffer_wbinvl1_vol
	v_cmp_eq_u32_e32 vcc, 0, v8
	s_and_b64 vcc, vcc, exec
	s_or_b64 s[30:31], s[30:31], vcc
	s_mov_b64 vcc, -1
	s_or_b64 s[94:95], s[94:95], exec
	s_and_saveexec_b64 s[34:35], s[30:31]
	s_cbranch_execz .LBB2_810
.LBB2_814:                              ;   in Loop: Header=BB2_811 Depth=4
	s_sleep 1
	s_trap 2
	ds_read_b64 v[8:9], v0
	s_waitcnt lgkmcnt(0)
	s_andn2_b64 s[94:95], s[94:95], exec
	v_cmp_ge_u64_e32 vcc, v[8:9], v[12:13]
	s_orn2_b64 vcc, vcc, exec
	s_branch .LBB2_810
.LBB2_815:                              ;   in Loop: Header=BB2_756 Depth=3
	s_or_b64 exec, exec, s[90:91]
	s_and_saveexec_b64 s[90:91], s[92:93]
	s_xor_b64 s[90:91], exec, s[90:91]
	s_cbranch_execz .LBB2_817
; %bb.816:                              ;   in Loop: Header=BB2_756 Depth=3
	ds_write_b32 v0, v28
	s_trap 2
.LBB2_817:                              ;   in Loop: Header=BB2_756 Depth=3
	s_or_b64 exec, exec, s[88:89]
	;;#ASMSTART
	s_wakeup
	;;#ASMEND
.LBB2_818:                              ;   in Loop: Header=BB2_756 Depth=3
	s_or_b64 exec, exec, s[40:41]
.LBB2_819:                              ;   in Loop: Header=BB2_756 Depth=3
	s_andn2_saveexec_b64 s[28:29], s[28:29]
	s_cbranch_execz .LBB2_821
; %bb.820:                              ;   in Loop: Header=BB2_756 Depth=3
	s_waitcnt vmcnt(0) lgkmcnt(0)
	buffer_wbinvl1_vol
	s_barrier
.LBB2_821:                              ;   in Loop: Header=BB2_756 Depth=3
	s_or_b64 exec, exec, s[28:29]
.LBB2_822:                              ;   in Loop: Header=BB2_756 Depth=3
	s_or_b64 exec, exec, s[26:27]
	s_trap 2
	s_waitcnt lgkmcnt(0)
	ds_read_b64 v[42:43], v0
	s_waitcnt lgkmcnt(0)
	v_cmp_eq_u64_e32 vcc, 0, v[42:43]
	s_cbranch_vccnz .LBB2_831
; %bb.823:                              ;   in Loop: Header=BB2_756 Depth=3
	s_trap 2
	ds_read_b64 v[44:45], v0
	s_waitcnt lgkmcnt(0)
	v_cmp_eq_u64_e32 vcc, 0, v[44:45]
	s_cbranch_vccnz .LBB2_831
; %bb.824:                              ;   in Loop: Header=BB2_756 Depth=3
	s_trap 2
	ds_read_b64 v[46:47], v0
	v_cmp_eq_u32_e32 vcc, 0, v0
	v_cndmask_b32_e32 v48, 0, v52, vcc
	v_lshlrev_b32_e32 v49, 2, v48
	s_mov_b64 s[26:27], -1
	s_waitcnt lgkmcnt(0)
	v_cmp_ne_u64_e32 vcc, 0, v[46:47]
	s_cbranch_vccz .LBB2_860
; %bb.825:                              ;   in Loop: Header=BB2_756 Depth=3
	s_and_saveexec_b64 s[28:29], s[20:21]
	s_cbranch_execz .LBB2_827
; %bb.826:                              ;   in Loop: Header=BB2_756 Depth=3
	ds_read_b32 v0, v0 offset:720
	s_waitcnt lgkmcnt(0)
	v_and_b32_e32 v0, 15, v0
	v_cmp_eq_u32_e32 vcc, 0, v0
	s_orn2_b64 s[26:27], vcc, exec
.LBB2_827:                              ;   in Loop: Header=BB2_756 Depth=3
	s_or_b64 exec, exec, s[28:29]
	s_and_saveexec_b64 s[28:29], s[22:23]
	s_cbranch_execz .LBB2_829
; %bb.828:                              ;   in Loop: Header=BB2_756 Depth=3
	ds_read_b32 v0, v0 offset:784
	s_waitcnt lgkmcnt(0)
	v_and_b32_e32 v0, 15, v0
	v_cmp_eq_u32_e32 vcc, 0, v0
	s_and_b64 s[40:41], s[26:27], vcc
	s_andn2_b64 s[26:27], s[26:27], exec
	s_and_b64 s[40:41], s[40:41], exec
	s_or_b64 s[26:27], s[26:27], s[40:41]
.LBB2_829:                              ;   in Loop: Header=BB2_756 Depth=3
	s_or_b64 exec, exec, s[28:29]
	buffer_load_dword v8, off, s[0:3], s33 offset:68 ; 4-byte Folded Reload
	s_xor_b64 s[26:27], s[26:27], -1
	v_cndmask_b32_e64 v0, 0, 1, s[26:27]
	s_mov_b64 s[28:29], -1
	v_mov_b32_e32 v14, 0
	v_cmp_ne_u32_e32 vcc, 0, v0
	v_mov_b32_e32 v53, v49
	v_mov_b32_e32 v0, v58
	s_cbranch_vccz .LBB2_832
; %bb.830:                              ;   in Loop: Header=BB2_756 Depth=3
	s_and_saveexec_b64 s[40:41], s[28:29]
	s_cbranch_execnz .LBB2_849
	s_branch .LBB2_859
.LBB2_831:                              ;   in Loop: Header=BB2_756 Depth=3
	s_mov_b64 s[26:27], 0
	s_and_saveexec_b64 s[28:29], s[10:11]
	s_cbranch_execnz .LBB2_890
	s_branch .LBB2_908
.LBB2_832:                              ;   in Loop: Header=BB2_756 Depth=3
	s_waitcnt vmcnt(0)
	v_ashrrev_i32_e32 v8, 31, v49
	v_lshrrev_b32_e32 v8, 22, v8
	v_add_u32_e32 v8, v49, v8
	v_ashrrev_i32_e32 v9, 10, v8
	v_and_b32_e32 v19, 0xfffffc00, v8
	buffer_load_dword v8, off, s[0:3], s33 offset:88 ; 4-byte Folded Reload
	v_sub_u32_e32 v36, v49, v19
	v_cmp_lt_i32_e64 s[26:27], 15, v36
	v_sub_u32_e32 v0, v49, v50
	s_waitcnt vmcnt(0)
	v_addc_co_u32_e64 v30, vcc, v9, v8, s[26:27]
	v_cmp_lt_i32_e32 vcc, 15, v0
	s_and_saveexec_b64 s[88:89], vcc
	s_cbranch_execz .LBB2_838
; %bb.833:                              ;   in Loop: Header=BB2_756 Depth=3
	buffer_load_dword v8, off, s[0:3], s33 offset:124 ; 4-byte Folded Reload
	v_add_co_u32_e32 v55, vcc, v42, v50
	s_mov_b64 s[90:91], 0
	s_waitcnt vmcnt(0)
	v_addc_co_u32_e32 v56, vcc, v43, v8, vcc
	v_add_co_u32_e32 v14, vcc, v44, v50
	v_addc_co_u32_e32 v18, vcc, v45, v8, vcc
	v_add_co_u32_e32 v37, vcc, v46, v50
	v_addc_co_u32_e32 v15, vcc, v47, v8, vcc
.LBB2_834:                              ;   Parent Loop BB2_47 Depth=1
                                        ;     Parent Loop BB2_753 Depth=2
                                        ;       Parent Loop BB2_756 Depth=3
                                        ; =>      This Loop Header: Depth=4
                                        ;           Child Loop BB2_835 Depth 5
	global_load_dwordx4 v[8:11], v[55:56], off glc slc
	s_mov_b64 s[92:93], -1
	s_mov_b64 s[94:95], 0
	s_waitcnt vmcnt(0)
.LBB2_835:                              ;   Parent Loop BB2_47 Depth=1
                                        ;     Parent Loop BB2_753 Depth=2
                                        ;       Parent Loop BB2_756 Depth=3
                                        ;         Parent Loop BB2_834 Depth=4
                                        ; =>        This Inner Loop Header: Depth=5
	s_cmp_eq_u32 s94, 1
	s_cselect_b64 s[28:29], -1, 0
	v_cndmask_b32_e64 v17, v18, v15, s[28:29]
	v_cndmask_b32_e64 v16, v14, v37, s[28:29]
	global_store_dwordx4 v[16:17], v[8:11], off glc slc
	v_add_co_u32_e32 v16, vcc, 0x400, v16
	s_cmp_eq_u32 s94, 0
	v_addc_co_u32_e32 v17, vcc, 0, v17, vcc
	s_cselect_b64 vcc, -1, 0
	s_and_b64 s[40:41], exec, s[92:93]
	s_mov_b64 s[94:95], 1
	v_cndmask_b32_e64 v37, v37, v16, s[28:29]
	s_mov_b64 s[92:93], 0
	v_cndmask_b32_e64 v15, v15, v17, s[28:29]
	v_cndmask_b32_e32 v18, v18, v17, vcc
	v_cndmask_b32_e32 v14, v14, v16, vcc
	s_mov_b64 vcc, s[40:41]
	s_cbranch_vccnz .LBB2_835
; %bb.836:                              ;   in Loop: Header=BB2_834 Depth=4
	v_add_co_u32_e32 v14, vcc, v14, v5
	v_addc_co_u32_e32 v18, vcc, v18, v29, vcc
	v_add_co_u32_e32 v37, vcc, v37, v5
	v_addc_co_u32_e32 v15, vcc, v15, v29, vcc
	;; [unrolled: 2-line block ×3, first 2 shown]
	v_sub_u32_e32 v0, v0, v32
	v_cmp_gt_i32_e32 vcc, 16, v0
	s_or_b64 s[90:91], vcc, s[90:91]
	v_sub_u32_e32 v30, v30, v62
	s_andn2_b64 exec, exec, s[90:91]
	s_cbranch_execnz .LBB2_834
; %bb.837:                              ;   in Loop: Header=BB2_756 Depth=3
	s_or_b64 exec, exec, s[90:91]
	v_mov_b32_e32 v56, 0xd0
.LBB2_838:                              ;   in Loop: Header=BB2_756 Depth=3
	s_or_b64 exec, exec, s[88:89]
	v_and_b32_e32 v9, 12, v49
	v_cndmask_b32_e64 v18, v36, v9, s[26:27]
	v_mov_b32_e32 v14, 0
	v_cmp_ne_u32_e32 vcc, 0, v18
	s_mov_b64 s[28:29], 0
                                        ; implicit-def: $vgpr53
                                        ; implicit-def: $vgpr0
                                        ; implicit-def: $vgpr8
	s_and_saveexec_b64 s[88:89], vcc
	s_cbranch_execz .LBB2_848
; %bb.839:                              ;   in Loop: Header=BB2_756 Depth=3
	buffer_load_dword v8, off, s[0:3], s33 offset:104 ; 4-byte Folded Reload
	v_sub_u32_e32 v0, v36, v9
	v_cndmask_b32_e64 v0, 0, v0, s[26:27]
	v_cmp_lt_i32_e32 vcc, 0, v30
	v_add_u32_e32 v19, v0, v19
	v_cndmask_b32_e32 v0, 0, v62, vcc
	v_sub_u32_e32 v0, v0, v30
	v_ashrrev_i32_e32 v10, 31, v18
	v_lshrrev_b32_e32 v10, 22, v10
	v_add_u32_e32 v10, v18, v10
	v_and_b32_e32 v36, 0xfffffc00, v10
	v_sub_u32_e32 v57, v18, v36
	v_ashrrev_i32_e32 v11, 10, v10
	v_cmp_lt_i32_e64 s[26:27], 15, v57
	v_addc_co_u32_e64 v10, vcc, 0, v11, s[26:27]
	s_waitcnt vmcnt(0)
	v_lshl_add_u32 v0, v0, 6, v8
	v_ashrrev_i32_e32 v8, 31, v0
	v_lshrrev_b32_e32 v8, 26, v8
	v_add_u32_e32 v8, v0, v8
	v_ashrrev_i32_e32 v9, 6, v8
	v_and_b32_e32 v8, 0xffffffc0, v8
	v_sub_u32_e32 v30, v0, v8
	v_lshlrev_b32_e32 v0, 4, v30
	v_lshl_add_u32 v8, v9, 10, v0
	v_sub_u32_e32 v0, v18, v8
	v_sub_u32_e32 v37, v10, v9
	v_cmp_lt_i32_e32 vcc, 15, v0
	s_and_saveexec_b64 s[90:91], vcc
	s_cbranch_execz .LBB2_845
; %bb.840:                              ;   in Loop: Header=BB2_756 Depth=3
	v_add_u32_e32 v8, v8, v19
	v_ashrrev_i32_e32 v9, 31, v8
	v_add_co_u32_e32 v55, vcc, v8, v42
	v_addc_co_u32_e32 v56, vcc, v9, v43, vcc
	v_add_co_u32_e32 v14, vcc, v8, v44
	v_addc_co_u32_e32 v53, vcc, v9, v45, vcc
	;; [unrolled: 2-line block ×3, first 2 shown]
	s_mov_b64 s[92:93], 0
.LBB2_841:                              ;   Parent Loop BB2_47 Depth=1
                                        ;     Parent Loop BB2_753 Depth=2
                                        ;       Parent Loop BB2_756 Depth=3
                                        ; =>      This Loop Header: Depth=4
                                        ;           Child Loop BB2_842 Depth 5
	global_load_dwordx4 v[8:11], v[55:56], off glc slc
	s_mov_b64 s[94:95], -1
	s_mov_b64 s[30:31], 0
	s_waitcnt vmcnt(0)
.LBB2_842:                              ;   Parent Loop BB2_47 Depth=1
                                        ;     Parent Loop BB2_753 Depth=2
                                        ;       Parent Loop BB2_756 Depth=3
                                        ;         Parent Loop BB2_841 Depth=4
                                        ; =>        This Inner Loop Header: Depth=5
	s_cmp_eq_u32 s30, 1
	s_cselect_b64 s[28:29], -1, 0
	v_cndmask_b32_e64 v17, v53, v15, s[28:29]
	v_cndmask_b32_e64 v16, v14, v58, s[28:29]
	global_store_dwordx4 v[16:17], v[8:11], off glc slc
	v_add_co_u32_e32 v16, vcc, 0x400, v16
	s_cmp_eq_u32 s30, 0
	v_addc_co_u32_e32 v17, vcc, 0, v17, vcc
	s_cselect_b64 vcc, -1, 0
	s_and_b64 s[40:41], exec, s[94:95]
	s_mov_b64 s[30:31], 1
	v_cndmask_b32_e64 v58, v58, v16, s[28:29]
	s_mov_b64 s[94:95], 0
	v_cndmask_b32_e64 v15, v15, v17, s[28:29]
	v_cndmask_b32_e32 v53, v53, v17, vcc
	v_cndmask_b32_e32 v14, v14, v16, vcc
	s_mov_b64 vcc, s[40:41]
	s_cbranch_vccnz .LBB2_842
; %bb.843:                              ;   in Loop: Header=BB2_841 Depth=4
	v_add_co_u32_e32 v14, vcc, v14, v5
	v_addc_co_u32_e32 v53, vcc, v53, v29, vcc
	v_add_co_u32_e32 v58, vcc, v58, v5
	v_addc_co_u32_e32 v15, vcc, v15, v29, vcc
	;; [unrolled: 2-line block ×3, first 2 shown]
	v_sub_u32_e32 v0, v0, v32
	v_cmp_gt_i32_e32 vcc, 16, v0
	s_or_b64 s[92:93], vcc, s[92:93]
	v_sub_u32_e32 v37, v37, v62
	s_andn2_b64 exec, exec, s[92:93]
	s_cbranch_execnz .LBB2_841
; %bb.844:                              ;   in Loop: Header=BB2_756 Depth=3
	s_or_b64 exec, exec, s[92:93]
	buffer_load_dword v58, off, s[0:3], s33 offset:144 ; 4-byte Folded Reload
	v_mov_b32_e32 v56, 0xd0
.LBB2_845:                              ;   in Loop: Header=BB2_756 Depth=3
	s_or_b64 exec, exec, s[90:91]
	v_and_b32_e32 v9, 12, v18
	v_cndmask_b32_e64 v53, v57, v9, s[26:27]
	v_mov_b32_e32 v14, 0
	v_cmp_ne_u32_e32 vcc, 0, v53
	s_mov_b64 s[40:41], 0
                                        ; implicit-def: $vgpr0
                                        ; implicit-def: $vgpr8
	s_and_saveexec_b64 s[28:29], vcc
	s_cbranch_execz .LBB2_847
; %bb.846:                              ;   in Loop: Header=BB2_756 Depth=3
	v_sub_u32_e32 v0, v57, v9
	v_cndmask_b32_e64 v0, 0, v0, s[26:27]
	v_cmp_lt_i32_e32 vcc, 0, v37
	v_add3_u32 v14, v36, v19, v0
	v_cndmask_b32_e32 v0, 0, v62, vcc
	v_sub_u32_e32 v0, v0, v37
	v_lshl_add_u32 v0, v0, 6, v30
	v_ashrrev_i32_e32 v8, 31, v0
	v_lshrrev_b32_e32 v8, 26, v8
	v_add_u32_e32 v8, v0, v8
	v_ashrrev_i32_e32 v8, 6, v8
	s_mov_b64 s[40:41], exec
.LBB2_847:                              ;   in Loop: Header=BB2_756 Depth=3
	s_or_b64 exec, exec, s[28:29]
	s_and_b64 s[28:29], s[40:41], exec
	v_ashrrev_i32_e32 v57, 31, v61
.LBB2_848:                              ;   in Loop: Header=BB2_756 Depth=3
	s_or_b64 exec, exec, s[88:89]
	buffer_load_dword v34, off, s[0:3], s33 offset:72 ; 4-byte Folded Reload
	buffer_load_dword v35, off, s[0:3], s33 offset:76 ; 4-byte Folded Reload
	;; [unrolled: 1-line block ×4, first 2 shown]
	v_mov_b32_e32 v30, 0x90
	s_and_saveexec_b64 s[40:41], s[28:29]
	s_cbranch_execz .LBB2_859
.LBB2_849:                              ;   in Loop: Header=BB2_756 Depth=3
	v_ashrrev_i32_e32 v9, 31, v53
	v_lshrrev_b32_e32 v9, 23, v9
	v_add_u32_e32 v9, v53, v9
	v_ashrrev_i32_e32 v19, 9, v9
	s_waitcnt vmcnt(0)
	v_sub_u32_e32 v15, v19, v8
	v_ashrrev_i32_e32 v9, 31, v0
	v_cmp_lt_i32_e32 vcc, 0, v15
	v_lshrrev_b32_e32 v18, 26, v9
	s_and_saveexec_b64 s[26:27], vcc
	s_cbranch_execz .LBB2_853
; %bb.850:                              ;   in Loop: Header=BB2_756 Depth=3
	v_add_u32_e32 v9, v0, v18
	v_and_b32_e32 v9, 0x3fffffc0, v9
	v_sub_u32_e32 v9, v0, v9
	v_lshlrev_b32_e32 v9, 2, v9
	v_lshlrev_b32_e32 v8, 9, v8
	v_add3_u32 v16, v9, v14, v8
	v_ashrrev_i32_e32 v17, 31, v16
	v_add_co_u32_e32 v8, vcc, v16, v42
	v_addc_co_u32_e32 v9, vcc, v17, v43, vcc
	v_add_co_u32_e32 v10, vcc, v16, v44
	v_addc_co_u32_e32 v11, vcc, v17, v45, vcc
	;; [unrolled: 2-line block ×3, first 2 shown]
	s_mov_b64 s[28:29], 0
.LBB2_851:                              ;   Parent Loop BB2_47 Depth=1
                                        ;     Parent Loop BB2_753 Depth=2
                                        ;       Parent Loop BB2_756 Depth=3
                                        ; =>      This Inner Loop Header: Depth=4
	flat_load_dword v16, v[8:9] glc slc
	flat_load_dword v17, v[8:9] offset:256 glc slc
	v_add_co_u32_e32 v8, vcc, v8, v33
	v_addc_co_u32_e32 v9, vcc, 0, v9, vcc
	v_sub_u32_e32 v15, v15, v62
	v_cmp_gt_i32_e32 vcc, 1, v15
	s_or_b64 s[28:29], vcc, s[28:29]
	s_waitcnt vmcnt(0) lgkmcnt(0)
	flat_store_dword v[10:11], v16 glc slc
	flat_store_dword v[10:11], v17 offset:256 glc slc
	flat_store_dword v[55:56], v16 glc slc
	flat_store_dword v[55:56], v17 offset:256 glc slc
	v_add_co_u32_e32 v10, vcc, v10, v33
	v_addc_co_u32_e32 v11, vcc, 0, v11, vcc
	v_add_co_u32_e32 v55, vcc, v55, v33
	v_addc_co_u32_e32 v56, vcc, 0, v56, vcc
	s_andn2_b64 exec, exec, s[28:29]
	s_cbranch_execnz .LBB2_851
; %bb.852:                              ;   in Loop: Header=BB2_756 Depth=3
	s_or_b64 exec, exec, s[28:29]
	v_mov_b32_e32 v56, 0xd0
.LBB2_853:                              ;   in Loop: Header=BB2_756 Depth=3
	s_or_b64 exec, exec, s[26:27]
	v_lshlrev_b32_e32 v8, 9, v19
	v_cmp_ne_u32_e32 vcc, v53, v8
	s_and_b64 exec, exec, vcc
	s_cbranch_execz .LBB2_859
; %bb.854:                              ;   in Loop: Header=BB2_756 Depth=3
	v_add_u32_e32 v9, v0, v18
	v_and_b32_e32 v9, 0xffffffc0, v9
	v_sub_u32_e32 v0, v0, v9
	v_lshlrev_b32_e32 v9, 6, v15
	v_sub_u32_e32 v0, v0, v9
	v_ashrrev_i32_e32 v9, 31, v0
	v_lshrrev_b32_e32 v9, 26, v9
	v_add_u32_e32 v9, v0, v9
	v_and_b32_e32 v10, 0x3fffffc0, v9
	v_sub_u32_e32 v0, v0, v10
	v_lshlrev_b32_e32 v9, 2, v9
	v_and_b32_e32 v9, 0xffffff00, v9
	v_lshlrev_b32_e32 v0, 2, v0
	v_add3_u32 v8, v9, v0, v8
	v_sub_u32_e32 v0, v53, v8
	v_cmp_lt_i32_e32 vcc, 3, v0
	s_and_b64 exec, exec, vcc
	s_cbranch_execz .LBB2_859
; %bb.855:                              ;   in Loop: Header=BB2_756 Depth=3
	v_add_u32_e32 v14, v8, v14
	v_ashrrev_i32_e32 v15, 31, v14
	v_add_co_u32_e32 v8, vcc, v14, v42
	v_addc_co_u32_e32 v9, vcc, v15, v43, vcc
	v_add_co_u32_e32 v10, vcc, v14, v44
	v_addc_co_u32_e32 v11, vcc, v15, v45, vcc
	v_add_co_u32_e32 v14, vcc, v14, v46
	v_addc_co_u32_e32 v15, vcc, v15, v47, vcc
	s_mov_b64 s[88:89], 0
.LBB2_856:                              ;   Parent Loop BB2_47 Depth=1
                                        ;     Parent Loop BB2_753 Depth=2
                                        ;       Parent Loop BB2_756 Depth=3
                                        ; =>      This Loop Header: Depth=4
                                        ;           Child Loop BB2_857 Depth 5
	flat_load_dword v18, v[8:9] glc slc
	s_mov_b64 s[90:91], -1
	s_mov_b64 s[92:93], 0
	s_waitcnt vmcnt(0)
.LBB2_857:                              ;   Parent Loop BB2_47 Depth=1
                                        ;     Parent Loop BB2_753 Depth=2
                                        ;       Parent Loop BB2_756 Depth=3
                                        ;         Parent Loop BB2_856 Depth=4
                                        ; =>        This Inner Loop Header: Depth=5
	s_cmp_eq_u32 s92, 1
	s_cselect_b64 s[26:27], -1, 0
	v_cndmask_b32_e64 v17, v11, v15, s[26:27]
	v_cndmask_b32_e64 v16, v10, v14, s[26:27]
	s_waitcnt lgkmcnt(0)
	flat_store_dword v[16:17], v18 glc slc
	v_add_co_u32_e32 v16, vcc, 0x100, v16
	s_cmp_eq_u32 s92, 0
	v_addc_co_u32_e32 v17, vcc, 0, v17, vcc
	s_cselect_b64 vcc, -1, 0
	s_and_b64 s[28:29], exec, s[90:91]
	s_mov_b64 s[92:93], 1
	v_cndmask_b32_e64 v14, v14, v16, s[26:27]
	s_mov_b64 s[90:91], 0
	v_cndmask_b32_e64 v15, v15, v17, s[26:27]
	v_cndmask_b32_e32 v11, v11, v17, vcc
	v_cndmask_b32_e32 v10, v10, v16, vcc
	s_mov_b64 vcc, s[28:29]
	s_cbranch_vccnz .LBB2_857
; %bb.858:                              ;   in Loop: Header=BB2_856 Depth=4
	buffer_load_dword v17, off, s[0:3], s33 offset:60 ; 4-byte Folded Reload
	v_add_u32_e32 v16, 0xffffff00, v4
	v_add_co_u32_e32 v10, vcc, v10, v16
	v_sub_u32_e32 v0, v0, v4
	s_waitcnt vmcnt(0)
	v_addc_co_u32_e32 v11, vcc, v11, v17, vcc
	v_add_co_u32_e32 v14, vcc, v14, v16
	buffer_load_dword v16, off, s[0:3], s33 offset:64 ; 4-byte Folded Reload
	v_addc_co_u32_e32 v15, vcc, v15, v17, vcc
	v_cmp_gt_i32_e32 vcc, 4, v0
	s_or_b64 s[88:89], vcc, s[88:89]
	s_waitcnt vmcnt(0)
	v_add_co_u32_e32 v8, vcc, v16, v8
	v_addc_co_u32_e32 v9, vcc, v59, v9, vcc
	s_andn2_b64 exec, exec, s[88:89]
	s_cbranch_execnz .LBB2_856
.LBB2_859:                              ;   in Loop: Header=BB2_756 Depth=3
	s_or_b64 exec, exec, s[40:41]
	s_mov_b64 s[26:27], 0
.LBB2_860:                              ;   in Loop: Header=BB2_756 Depth=3
	s_and_b64 vcc, exec, s[26:27]
	v_lshlrev_b32_e32 v46, 11, v62
	s_cbranch_vccz .LBB2_889
; %bb.861:                              ;   in Loop: Header=BB2_756 Depth=3
	s_mov_b64 s[26:27], -1
	s_and_saveexec_b64 s[28:29], s[20:21]
	s_cbranch_execz .LBB2_863
; %bb.862:                              ;   in Loop: Header=BB2_756 Depth=3
	ds_read_b32 v0, v0 offset:720
	s_waitcnt lgkmcnt(0)
	v_and_b32_e32 v0, 15, v0
	v_cmp_eq_u32_e32 vcc, 0, v0
	s_orn2_b64 s[26:27], vcc, exec
.LBB2_863:                              ;   in Loop: Header=BB2_756 Depth=3
	s_or_b64 exec, exec, s[28:29]
	s_and_saveexec_b64 s[28:29], s[18:19]
	s_cbranch_execz .LBB2_865
; %bb.864:                              ;   in Loop: Header=BB2_756 Depth=3
	ds_read_b32 v0, v0 offset:784
	s_waitcnt lgkmcnt(0)
	v_and_b32_e32 v0, 15, v0
	v_cmp_eq_u32_e32 vcc, 0, v0
	s_and_b64 s[40:41], s[26:27], vcc
	s_andn2_b64 s[26:27], s[26:27], exec
	s_and_b64 s[40:41], s[40:41], exec
	s_or_b64 s[26:27], s[26:27], s[40:41]
.LBB2_865:                              ;   in Loop: Header=BB2_756 Depth=3
	s_or_b64 exec, exec, s[28:29]
	s_xor_b64 s[26:27], s[26:27], -1
	s_waitcnt vmcnt(0)
	v_cndmask_b32_e64 v8, 0, 1, s[26:27]
	s_mov_b64 s[40:41], -1
	v_mov_b32_e32 v0, 0
	v_cmp_ne_u32_e32 vcc, 0, v8
	s_cbranch_vccz .LBB2_867
; %bb.866:                              ;   in Loop: Header=BB2_756 Depth=3
	buffer_load_dword v10, off, s[0:3], s33 offset:68 ; 4-byte Folded Reload
	v_mov_b32_e32 v8, v58
	s_and_saveexec_b64 s[26:27], s[40:41]
	s_cbranch_execnz .LBB2_880
	s_branch .LBB2_888
.LBB2_867:                              ;   in Loop: Header=BB2_756 Depth=3
	buffer_load_dword v8, off, s[0:3], s33 offset:68 ; 4-byte Folded Reload
	v_ashrrev_i32_e32 v0, 31, v49
	v_lshrrev_b32_e32 v0, 21, v0
	v_add_u32_e32 v0, v49, v0
	v_ashrrev_i32_e32 v0, 11, v0
	s_waitcnt vmcnt(0)
	v_sub_u32_e32 v11, v0, v8
	v_cmp_lt_i32_e32 vcc, 0, v11
	s_and_saveexec_b64 s[26:27], vcc
	s_cbranch_execz .LBB2_871
; %bb.868:                              ;   in Loop: Header=BB2_756 Depth=3
	buffer_load_dword v8, off, s[0:3], s33 offset:136 ; 4-byte Folded Reload
	buffer_load_dword v9, off, s[0:3], s33 offset:140 ; 4-byte Folded Reload
	s_mov_b64 s[28:29], 0
.LBB2_869:                              ;   Parent Loop BB2_47 Depth=1
                                        ;     Parent Loop BB2_753 Depth=2
                                        ;       Parent Loop BB2_756 Depth=3
                                        ; =>      This Inner Loop Header: Depth=4
	s_waitcnt vmcnt(0)
	v_add_co_u32_e32 v18, vcc, v42, v8
	v_addc_co_u32_e32 v19, vcc, v43, v9, vcc
	global_load_dwordx4 v[14:17], v[18:19], off glc slc
	global_load_dwordx4 v[22:25], v[18:19], off offset:1024 glc slc
	v_add_co_u32_e32 v18, vcc, v44, v8
	v_addc_co_u32_e32 v19, vcc, v45, v9, vcc
	v_add_co_u32_e32 v8, vcc, v8, v46
	v_sub_u32_e32 v11, v11, v62
	v_addc_co_u32_e32 v9, vcc, 0, v9, vcc
	v_cmp_gt_i32_e32 vcc, 1, v11
	s_or_b64 s[28:29], vcc, s[28:29]
	s_waitcnt vmcnt(0)
	global_store_dwordx4 v[18:19], v[14:17], off glc slc
	global_store_dwordx4 v[18:19], v[22:25], off offset:1024 glc slc
	s_andn2_b64 exec, exec, s[28:29]
	s_cbranch_execnz .LBB2_869
; %bb.870:                              ;   in Loop: Header=BB2_756 Depth=3
	s_or_b64 exec, exec, s[28:29]
	buffer_load_dword v24, off, s[0:3], s33 offset:128 ; 4-byte Folded Reload
	buffer_load_dword v25, off, s[0:3], s33 offset:132 ; 4-byte Folded Reload
	;; [unrolled: 1-line block ×4, first 2 shown]
.LBB2_871:                              ;   in Loop: Header=BB2_756 Depth=3
	s_or_b64 exec, exec, s[26:27]
	v_lshlrev_b32_e32 v9, 11, v0
	v_cmp_ne_u32_e32 vcc, v49, v9
	s_mov_b64 s[40:41], 0
	v_mov_b32_e32 v0, 0
                                        ; implicit-def: $vgpr8
                                        ; implicit-def: $vgpr10
	s_and_saveexec_b64 s[28:29], vcc
	s_cbranch_execz .LBB2_879
; %bb.872:                              ;   in Loop: Header=BB2_756 Depth=3
	buffer_load_dword v8, off, s[0:3], s33 offset:104 ; 4-byte Folded Reload
	v_lshlrev_b32_e32 v0, 6, v11
	v_sub_u32_e32 v10, v49, v9
	v_ashrrev_i32_e32 v14, 31, v10
	v_lshrrev_b32_e32 v14, 22, v14
	v_add_u32_e32 v14, v10, v14
	v_ashrrev_i32_e32 v16, 10, v14
	v_and_b32_e32 v14, 0xfffffc00, v14
	v_sub_u32_e32 v18, v10, v14
	v_cmp_lt_i32_e32 vcc, 15, v18
	s_waitcnt vmcnt(0)
	v_sub_u32_e32 v0, v8, v0
	v_ashrrev_i32_e32 v8, 31, v0
	v_lshrrev_b32_e32 v8, 26, v8
	v_add_u32_e32 v8, v0, v8
	v_ashrrev_i32_e32 v15, 6, v8
	v_and_b32_e32 v8, 0xffffffc0, v8
	v_sub_u32_e32 v11, v0, v8
	v_lshlrev_b32_e32 v0, 4, v11
	v_lshl_add_u32 v8, v15, 10, v0
	v_sub_u32_e32 v0, v10, v8
	v_addc_co_u32_e64 v10, s[26:27], 0, v16, vcc
	v_sub_u32_e32 v15, v10, v15
	v_cmp_lt_i32_e64 s[26:27], 15, v0
	s_and_saveexec_b64 s[40:41], s[26:27]
	s_cbranch_execz .LBB2_876
; %bb.873:                              ;   in Loop: Header=BB2_756 Depth=3
	v_add_u32_e32 v8, v8, v9
	v_ashrrev_i32_e32 v10, 31, v8
	s_mov_b64 s[88:89], 0
.LBB2_874:                              ;   Parent Loop BB2_47 Depth=1
                                        ;     Parent Loop BB2_753 Depth=2
                                        ;       Parent Loop BB2_756 Depth=3
                                        ; =>      This Inner Loop Header: Depth=4
	v_add_co_u32_e64 v16, s[26:27], v42, v8
	v_addc_co_u32_e64 v17, s[26:27], v43, v10, s[26:27]
	global_load_dwordx4 v[22:25], v[16:17], off glc slc
	v_add_co_u32_e64 v16, s[26:27], v44, v8
	v_addc_co_u32_e64 v17, s[26:27], v45, v10, s[26:27]
	v_add_co_u32_e64 v8, s[26:27], v8, v32
	v_sub_u32_e32 v0, v0, v32
	v_addc_co_u32_e64 v10, s[26:27], 0, v10, s[26:27]
	v_cmp_gt_i32_e64 s[26:27], 16, v0
	v_sub_u32_e32 v15, v15, v62
	s_or_b64 s[88:89], s[26:27], s[88:89]
	s_waitcnt vmcnt(0)
	global_store_dwordx4 v[16:17], v[22:25], off glc slc
	s_andn2_b64 exec, exec, s[88:89]
	s_cbranch_execnz .LBB2_874
; %bb.875:                              ;   in Loop: Header=BB2_756 Depth=3
	s_or_b64 exec, exec, s[88:89]
	buffer_load_dword v24, off, s[0:3], s33 offset:128 ; 4-byte Folded Reload
	buffer_load_dword v25, off, s[0:3], s33 offset:132 ; 4-byte Folded Reload
	;; [unrolled: 1-line block ×4, first 2 shown]
.LBB2_876:                              ;   in Loop: Header=BB2_756 Depth=3
	s_or_b64 exec, exec, s[40:41]
	v_and_b32_e32 v19, 12, v49
	v_cndmask_b32_e32 v49, v18, v19, vcc
	v_mov_b32_e32 v0, 0
	v_cmp_ne_u32_e64 s[26:27], 0, v49
	s_mov_b64 s[88:89], 0
                                        ; implicit-def: $vgpr8
                                        ; implicit-def: $vgpr10
	s_and_saveexec_b64 s[40:41], s[26:27]
	s_cbranch_execz .LBB2_878
; %bb.877:                              ;   in Loop: Header=BB2_756 Depth=3
	v_sub_u32_e32 v0, v18, v19
	v_cndmask_b32_e32 v0, 0, v0, vcc
	v_cmp_lt_i32_e32 vcc, 0, v15
	v_cndmask_b32_e32 v8, 0, v62, vcc
	v_sub_u32_e32 v8, v8, v15
	v_lshl_add_u32 v8, v8, 6, v11
	v_add3_u32 v0, v14, v9, v0
	v_ashrrev_i32_e32 v9, 31, v8
	v_lshrrev_b32_e32 v9, 26, v9
	v_add_u32_e32 v9, v8, v9
	v_ashrrev_i32_e32 v10, 6, v9
	s_mov_b64 s[88:89], exec
.LBB2_878:                              ;   in Loop: Header=BB2_756 Depth=3
	s_or_b64 exec, exec, s[40:41]
	s_and_b64 s[40:41], s[88:89], exec
.LBB2_879:                              ;   in Loop: Header=BB2_756 Depth=3
	s_or_b64 exec, exec, s[28:29]
	s_and_saveexec_b64 s[26:27], s[40:41]
	s_cbranch_execz .LBB2_888
.LBB2_880:                              ;   in Loop: Header=BB2_756 Depth=3
	v_ashrrev_i32_e32 v9, 31, v49
	v_lshrrev_b32_e32 v9, 23, v9
	v_add_u32_e32 v9, v49, v9
	v_ashrrev_i32_e32 v14, 9, v9
	s_waitcnt vmcnt(0)
	v_sub_u32_e32 v9, v14, v10
	v_ashrrev_i32_e32 v11, 31, v8
	v_cmp_lt_i32_e32 vcc, 0, v9
	v_lshrrev_b32_e32 v11, 26, v11
	s_and_saveexec_b64 s[28:29], vcc
	s_cbranch_execz .LBB2_884
; %bb.881:                              ;   in Loop: Header=BB2_756 Depth=3
	v_add_u32_e32 v15, v8, v11
	v_and_b32_e32 v15, 0x3fffffc0, v15
	v_sub_u32_e32 v15, v8, v15
	v_lshlrev_b32_e32 v15, 2, v15
	v_lshlrev_b32_e32 v10, 9, v10
	v_add3_u32 v10, v15, v0, v10
	v_ashrrev_i32_e32 v15, 31, v10
	s_mov_b64 s[40:41], 0
.LBB2_882:                              ;   Parent Loop BB2_47 Depth=1
                                        ;     Parent Loop BB2_753 Depth=2
                                        ;       Parent Loop BB2_756 Depth=3
                                        ; =>      This Inner Loop Header: Depth=4
	v_add_co_u32_e32 v16, vcc, v42, v10
	v_addc_co_u32_e32 v17, vcc, v43, v15, vcc
	flat_load_dword v18, v[16:17] glc slc
	flat_load_dword v19, v[16:17] offset:256 glc slc
	v_add_co_u32_e32 v16, vcc, v44, v10
	v_addc_co_u32_e32 v17, vcc, v45, v15, vcc
	v_add_co_u32_e32 v10, vcc, v10, v33
	v_sub_u32_e32 v9, v9, v62
	v_addc_co_u32_e32 v15, vcc, 0, v15, vcc
	v_cmp_gt_i32_e32 vcc, 1, v9
	s_or_b64 s[40:41], vcc, s[40:41]
	s_waitcnt vmcnt(0) lgkmcnt(0)
	flat_store_dword v[16:17], v18 glc slc
	flat_store_dword v[16:17], v19 offset:256 glc slc
	s_andn2_b64 exec, exec, s[40:41]
	s_cbranch_execnz .LBB2_882
; %bb.883:                              ;   in Loop: Header=BB2_756 Depth=3
	s_or_b64 exec, exec, s[40:41]
.LBB2_884:                              ;   in Loop: Header=BB2_756 Depth=3
	s_or_b64 exec, exec, s[28:29]
	v_lshlrev_b32_e32 v10, 9, v14
	v_cmp_ne_u32_e32 vcc, v49, v10
	s_and_b64 exec, exec, vcc
	s_cbranch_execz .LBB2_888
; %bb.885:                              ;   in Loop: Header=BB2_756 Depth=3
	v_add_u32_e32 v11, v8, v11
	v_and_b32_e32 v11, 0xffffffc0, v11
	v_sub_u32_e32 v8, v8, v11
	v_lshlrev_b32_e32 v9, 6, v9
	v_sub_u32_e32 v8, v8, v9
	v_ashrrev_i32_e32 v9, 31, v8
	v_lshrrev_b32_e32 v9, 26, v9
	v_add_u32_e32 v9, v8, v9
	v_and_b32_e32 v11, 0x3fffffc0, v9
	v_sub_u32_e32 v8, v8, v11
	v_lshlrev_b32_e32 v9, 2, v9
	v_and_b32_e32 v9, 0xffffff00, v9
	v_lshlrev_b32_e32 v8, 2, v8
	v_add3_u32 v9, v9, v8, v10
	v_sub_u32_e32 v8, v49, v9
	v_cmp_lt_i32_e32 vcc, 3, v8
	s_and_b64 exec, exec, vcc
	s_cbranch_execz .LBB2_888
; %bb.886:                              ;   in Loop: Header=BB2_756 Depth=3
	v_add_u32_e32 v0, v9, v0
	v_ashrrev_i32_e32 v9, 31, v0
	s_mov_b64 s[28:29], 0
.LBB2_887:                              ;   Parent Loop BB2_47 Depth=1
                                        ;     Parent Loop BB2_753 Depth=2
                                        ;       Parent Loop BB2_756 Depth=3
                                        ; =>      This Inner Loop Header: Depth=4
	v_add_co_u32_e32 v10, vcc, v42, v0
	v_addc_co_u32_e32 v11, vcc, v43, v9, vcc
	flat_load_dword v14, v[10:11] glc slc
	v_add_co_u32_e32 v10, vcc, v44, v0
	v_addc_co_u32_e32 v11, vcc, v45, v9, vcc
	v_add_co_u32_e32 v0, vcc, v0, v4
	v_sub_u32_e32 v8, v8, v4
	v_addc_co_u32_e32 v9, vcc, 0, v9, vcc
	v_cmp_gt_i32_e32 vcc, 4, v8
	s_or_b64 s[28:29], vcc, s[28:29]
	s_waitcnt vmcnt(0) lgkmcnt(0)
	flat_store_dword v[10:11], v14 glc slc
	s_andn2_b64 exec, exec, s[28:29]
	s_cbranch_execnz .LBB2_887
.LBB2_888:                              ;   in Loop: Header=BB2_756 Depth=3
	s_or_b64 exec, exec, s[26:27]
.LBB2_889:                              ;   in Loop: Header=BB2_756 Depth=3
	v_cmp_lt_i32_e64 s[26:27], 0, v48
	s_and_saveexec_b64 s[28:29], s[10:11]
	s_cbranch_execz .LBB2_908
.LBB2_890:                              ;   in Loop: Header=BB2_756 Depth=3
	s_and_saveexec_b64 s[40:41], s[56:57]
	s_xor_b64 s[40:41], exec, s[40:41]
	s_cbranch_execz .LBB2_905
; %bb.891:                              ;   in Loop: Header=BB2_756 Depth=3
	s_and_saveexec_b64 s[88:89], s[16:17]
	s_cbranch_execz .LBB2_904
; %bb.892:                              ;   in Loop: Header=BB2_756 Depth=3
	s_mov_b64 s[92:93], exec
	v_mbcnt_lo_u32_b32 v0, s92, 0
	v_mbcnt_hi_u32_b32 v0, s93, v0
	v_cmp_eq_u32_e32 vcc, 0, v0
	s_waitcnt vmcnt(0) lgkmcnt(0)
	buffer_wbinvl1_vol
	s_and_saveexec_b64 s[90:91], vcc
	s_cbranch_execz .LBB2_894
; %bb.893:                              ;   in Loop: Header=BB2_756 Depth=3
	s_bcnt1_i32_b64 s92, s[92:93]
	v_mov_b32_e32 v8, s92
	v_mov_b32_e32 v9, v2
	ds_add_u64 v0, v[8:9]
	s_trap 2
.LBB2_894:                              ;   in Loop: Header=BB2_756 Depth=3
	s_or_b64 exec, exec, s[90:91]
	s_trap 2
	ds_read_b64 v[8:9], v0
	s_waitcnt lgkmcnt(0)
	v_add_co_u32_e32 v12, vcc, v12, v62
	v_addc_co_u32_e32 v13, vcc, 0, v13, vcc
	v_cmp_lt_u64_e32 vcc, v[8:9], v[12:13]
	s_and_saveexec_b64 s[90:91], vcc
	s_cbranch_execz .LBB2_903
; %bb.895:                              ;   in Loop: Header=BB2_756 Depth=3
	s_mov_b32 s38, 0
	s_mov_b64 s[92:93], 0
                                        ; implicit-def: $sgpr94_sgpr95
                                        ; implicit-def: $sgpr30_sgpr31
	s_branch .LBB2_897
.LBB2_896:                              ;   in Loop: Header=BB2_897 Depth=4
	s_or_b64 exec, exec, s[36:37]
	s_and_b64 vcc, exec, vcc
	s_or_b64 s[92:93], vcc, s[92:93]
	s_andn2_b64 s[94:95], s[94:95], exec
	s_and_b64 vcc, s[30:31], exec
	s_or_b64 s[94:95], s[94:95], vcc
	s_andn2_b64 exec, exec, s[92:93]
	s_cbranch_execz .LBB2_901
.LBB2_897:                              ;   Parent Loop BB2_47 Depth=1
                                        ;     Parent Loop BB2_753 Depth=2
                                        ;       Parent Loop BB2_756 Depth=3
                                        ; =>      This Inner Loop Header: Depth=4
	s_add_i32 s38, s38, 1
	s_cmpk_lg_i32 s38, 0x2710
	s_cselect_b64 s[34:35], -1, 0
	s_and_b64 vcc, exec, s[34:35]
	s_cbranch_vccz .LBB2_899
; %bb.898:                              ;   in Loop: Header=BB2_897 Depth=4
	s_mov_b64 vcc, -1
	s_or_b64 s[30:31], s[30:31], exec
	s_and_saveexec_b64 s[36:37], s[34:35]
	s_cbranch_execz .LBB2_896
	s_branch .LBB2_900
.LBB2_899:                              ;   in Loop: Header=BB2_897 Depth=4
	s_trap 2
	ds_read_b64 v[8:9], v0
	s_andn2_b64 s[34:35], s[34:35], exec
	s_mov_b32 s38, 0
	s_waitcnt lgkmcnt(0)
	flat_load_dword v0, v[8:9] glc
	s_waitcnt vmcnt(0) lgkmcnt(0)
	buffer_wbinvl1_vol
	v_cmp_eq_u32_e32 vcc, 0, v0
	s_and_b64 vcc, vcc, exec
	s_or_b64 s[34:35], s[34:35], vcc
	s_mov_b64 vcc, -1
	s_or_b64 s[30:31], s[30:31], exec
	s_and_saveexec_b64 s[36:37], s[34:35]
	s_cbranch_execz .LBB2_896
.LBB2_900:                              ;   in Loop: Header=BB2_897 Depth=4
	s_sleep 1
	s_trap 2
	ds_read_b64 v[8:9], v0
	s_waitcnt lgkmcnt(0)
	s_andn2_b64 s[30:31], s[30:31], exec
	v_cmp_ge_u64_e32 vcc, v[8:9], v[12:13]
	s_orn2_b64 vcc, vcc, exec
	s_branch .LBB2_896
.LBB2_901:                              ;   in Loop: Header=BB2_756 Depth=3
	s_or_b64 exec, exec, s[92:93]
	s_and_saveexec_b64 s[92:93], s[94:95]
	s_xor_b64 s[92:93], exec, s[92:93]
	s_cbranch_execz .LBB2_903
; %bb.902:                              ;   in Loop: Header=BB2_756 Depth=3
	ds_write_b32 v0, v28
	s_trap 2
.LBB2_903:                              ;   in Loop: Header=BB2_756 Depth=3
	s_or_b64 exec, exec, s[90:91]
	;;#ASMSTART
	s_wakeup
	;;#ASMEND
.LBB2_904:                              ;   in Loop: Header=BB2_756 Depth=3
	s_or_b64 exec, exec, s[88:89]
.LBB2_905:                              ;   in Loop: Header=BB2_756 Depth=3
	s_andn2_saveexec_b64 s[40:41], s[40:41]
	s_cbranch_execz .LBB2_907
; %bb.906:                              ;   in Loop: Header=BB2_756 Depth=3
	s_waitcnt vmcnt(0) lgkmcnt(0)
	buffer_wbinvl1_vol
	s_barrier
.LBB2_907:                              ;   in Loop: Header=BB2_756 Depth=3
	s_or_b64 exec, exec, s[40:41]
.LBB2_908:                              ;   in Loop: Header=BB2_756 Depth=3
	s_or_b64 exec, exec, s[28:29]
	v_and_b32_e32 v0, 16, v60
	s_and_saveexec_b64 s[28:29], s[24:25]
	s_xor_b64 s[28:29], exec, s[28:29]
	s_cbranch_execz .LBB2_912
; %bb.909:                              ;   in Loop: Header=BB2_756 Depth=3
	s_waitcnt vmcnt(0)
	v_and_b32_e32 v8, 16, v60
	v_cmp_ne_u32_e32 vcc, 0, v8
	v_and_b32_e32 v0, 16, v60
	s_and_b64 s[40:41], vcc, s[26:27]
	s_and_saveexec_b64 s[26:27], s[40:41]
	s_cbranch_execz .LBB2_911
; %bb.910:                              ;   in Loop: Header=BB2_756 Depth=3
	v_mov_b32_e32 v0, 1
	s_waitcnt lgkmcnt(0)
	buffer_wbinvl1_vol
.LBB2_911:                              ;   in Loop: Header=BB2_756 Depth=3
	s_or_b64 exec, exec, s[26:27]
.LBB2_912:                              ;   in Loop: Header=BB2_756 Depth=3
	s_andn2_saveexec_b64 s[26:27], s[28:29]
	s_cbranch_execz .LBB2_931
; %bb.913:                              ;   in Loop: Header=BB2_756 Depth=3
	s_and_saveexec_b64 s[28:29], s[56:57]
	s_xor_b64 s[28:29], exec, s[28:29]
	s_cbranch_execz .LBB2_928
; %bb.914:                              ;   in Loop: Header=BB2_756 Depth=3
	s_and_saveexec_b64 s[40:41], s[16:17]
	s_cbranch_execz .LBB2_927
; %bb.915:                              ;   in Loop: Header=BB2_756 Depth=3
	s_mov_b64 s[90:91], exec
	s_waitcnt vmcnt(0)
	v_mbcnt_lo_u32_b32 v8, s90, 0
	v_mbcnt_hi_u32_b32 v8, s91, v8
	v_cmp_eq_u32_e32 vcc, 0, v8
	;;#ASMSTART
	s_waitcnt lgkmcnt(0) vmcnt(0)
	;;#ASMEND
	s_and_saveexec_b64 s[88:89], vcc
	s_cbranch_execz .LBB2_917
; %bb.916:                              ;   in Loop: Header=BB2_756 Depth=3
	s_bcnt1_i32_b64 s90, s[90:91]
	v_mov_b32_e32 v8, s90
	v_mov_b32_e32 v9, v2
	s_waitcnt lgkmcnt(0)
	ds_add_u64 v0, v[8:9]
	s_trap 2
.LBB2_917:                              ;   in Loop: Header=BB2_756 Depth=3
	s_or_b64 exec, exec, s[88:89]
	s_trap 2
	ds_read_b64 v[8:9], v0
	s_waitcnt lgkmcnt(0)
	v_add_co_u32_e32 v12, vcc, v12, v62
	v_addc_co_u32_e32 v13, vcc, 0, v13, vcc
	v_cmp_lt_u64_e32 vcc, v[8:9], v[12:13]
	s_and_saveexec_b64 s[88:89], vcc
	s_cbranch_execz .LBB2_926
; %bb.918:                              ;   in Loop: Header=BB2_756 Depth=3
	s_mov_b32 s36, 0
	s_mov_b64 s[90:91], 0
                                        ; implicit-def: $sgpr92_sgpr93
                                        ; implicit-def: $sgpr94_sgpr95
	s_branch .LBB2_920
.LBB2_919:                              ;   in Loop: Header=BB2_920 Depth=4
	s_or_b64 exec, exec, s[34:35]
	s_and_b64 vcc, exec, vcc
	s_or_b64 s[90:91], vcc, s[90:91]
	s_andn2_b64 s[92:93], s[92:93], exec
	s_and_b64 vcc, s[94:95], exec
	s_or_b64 s[92:93], s[92:93], vcc
	s_andn2_b64 exec, exec, s[90:91]
	s_cbranch_execz .LBB2_924
.LBB2_920:                              ;   Parent Loop BB2_47 Depth=1
                                        ;     Parent Loop BB2_753 Depth=2
                                        ;       Parent Loop BB2_756 Depth=3
                                        ; =>      This Inner Loop Header: Depth=4
	s_add_i32 s36, s36, 1
	s_cmpk_lg_i32 s36, 0x2710
	s_cselect_b64 s[30:31], -1, 0
	s_and_b64 vcc, exec, s[30:31]
	s_cbranch_vccz .LBB2_922
; %bb.921:                              ;   in Loop: Header=BB2_920 Depth=4
	s_mov_b64 vcc, -1
	s_or_b64 s[94:95], s[94:95], exec
	s_and_saveexec_b64 s[34:35], s[30:31]
	s_cbranch_execz .LBB2_919
	s_branch .LBB2_923
.LBB2_922:                              ;   in Loop: Header=BB2_920 Depth=4
	s_trap 2
	ds_read_b64 v[8:9], v0
	s_andn2_b64 s[30:31], s[30:31], exec
	s_mov_b32 s36, 0
	s_waitcnt lgkmcnt(0)
	flat_load_dword v8, v[8:9] glc
	s_waitcnt vmcnt(0) lgkmcnt(0)
	buffer_wbinvl1_vol
	v_cmp_eq_u32_e32 vcc, 0, v8
	s_and_b64 vcc, vcc, exec
	s_or_b64 s[30:31], s[30:31], vcc
	s_mov_b64 vcc, -1
	s_or_b64 s[94:95], s[94:95], exec
	s_and_saveexec_b64 s[34:35], s[30:31]
	s_cbranch_execz .LBB2_919
.LBB2_923:                              ;   in Loop: Header=BB2_920 Depth=4
	s_sleep 1
	s_trap 2
	ds_read_b64 v[8:9], v0
	s_waitcnt lgkmcnt(0)
	s_andn2_b64 s[94:95], s[94:95], exec
	v_cmp_ge_u64_e32 vcc, v[8:9], v[12:13]
	s_orn2_b64 vcc, vcc, exec
	s_branch .LBB2_919
.LBB2_924:                              ;   in Loop: Header=BB2_756 Depth=3
	s_or_b64 exec, exec, s[90:91]
	s_and_saveexec_b64 s[90:91], s[92:93]
	s_xor_b64 s[90:91], exec, s[90:91]
	s_cbranch_execz .LBB2_926
; %bb.925:                              ;   in Loop: Header=BB2_756 Depth=3
	ds_write_b32 v0, v28
	s_trap 2
.LBB2_926:                              ;   in Loop: Header=BB2_756 Depth=3
	s_or_b64 exec, exec, s[88:89]
	;;#ASMSTART
	s_wakeup
	;;#ASMEND
.LBB2_927:                              ;   in Loop: Header=BB2_756 Depth=3
	s_or_b64 exec, exec, s[40:41]
.LBB2_928:                              ;   in Loop: Header=BB2_756 Depth=3
	s_andn2_saveexec_b64 s[28:29], s[28:29]
	s_cbranch_execz .LBB2_930
; %bb.929:                              ;   in Loop: Header=BB2_756 Depth=3
	;;#ASMSTART
	s_waitcnt lgkmcnt(0) vmcnt(0)
	;;#ASMEND
	s_waitcnt vmcnt(0) lgkmcnt(0)
	s_barrier
.LBB2_930:                              ;   in Loop: Header=BB2_756 Depth=3
	s_or_b64 exec, exec, s[28:29]
.LBB2_931:                              ;   in Loop: Header=BB2_756 Depth=3
	s_or_b64 exec, exec, s[26:27]
	v_cmp_ne_u32_e32 vcc, 0, v0
	s_xor_b64 s[26:27], s[12:13], -1
	s_and_b64 s[28:29], vcc, s[26:27]
	s_and_saveexec_b64 s[26:27], s[28:29]
	s_cbranch_execz .LBB2_933
; %bb.932:                              ;   in Loop: Header=BB2_756 Depth=3
	s_waitcnt vmcnt(0)
	flat_store_dword v[24:25], v28
.LBB2_933:                              ;   in Loop: Header=BB2_756 Depth=3
	s_or_b64 exec, exec, s[26:27]
	v_and_b32_e32 v0, 48, v60
	v_cmp_ne_u32_e32 vcc, 0, v0
	s_and_saveexec_b64 s[26:27], vcc
	s_cbranch_execz .LBB2_755
; %bb.934:                              ;   in Loop: Header=BB2_756 Depth=3
	v_add_co_u32_e32 v38, vcc, 2, v38
	v_addc_co_u32_e32 v39, vcc, 0, v39, vcc
	flat_store_dwordx2 v[20:21], v[38:39]
	s_branch .LBB2_755
.LBB2_935:                              ;   in Loop: Header=BB2_753 Depth=2
	s_or_b64 exec, exec, s[42:43]
	v_cmp_gt_i32_e32 vcc, 2, v0
	s_and_saveexec_b64 s[28:29], vcc
	s_cbranch_execz .LBB2_1011
.LBB2_936:                              ;   in Loop: Header=BB2_753 Depth=2
	v_cmp_eq_u32_e64 s[42:43], 0, v0
	s_mov_b64 s[40:41], 0
	s_branch .LBB2_938
.LBB2_937:                              ;   in Loop: Header=BB2_938 Depth=3
	s_or_b64 exec, exec, s[26:27]
	v_add_u32_e32 v54, v52, v54
	s_mov_b64 s[42:43], 0
	s_andn2_b64 exec, exec, s[40:41]
	s_cbranch_execz .LBB2_1012
.LBB2_938:                              ;   Parent Loop BB2_47 Depth=1
                                        ;     Parent Loop BB2_753 Depth=2
                                        ; =>    This Loop Header: Depth=3
                                        ;         Child Loop BB2_944 Depth 4
                                        ;         Child Loop BB2_972 Depth 4
	;; [unrolled: 1-line block ×3, first 2 shown]
	v_sub_u32_e32 v0, v3, v54
	v_min_i32_e32 v52, v52, v0
	v_and_b32_e32 v0, 12, v60
	v_cmp_ne_u32_e32 vcc, 0, v0
	s_and_saveexec_b64 s[76:77], vcc
	s_cbranch_execz .LBB2_964
; %bb.939:                              ;   in Loop: Header=BB2_938 Depth=3
	v_and_b32_e32 v48, 8, v60
	s_waitcnt vmcnt(0) lgkmcnt(0)
	v_add_co_u32_e32 v10, vcc, v26, v48
	v_addc_co_u32_e32 v11, vcc, 0, v27, vcc
	v_add_co_u32_e32 v8, vcc, 2, v38
	v_addc_co_u32_e32 v9, vcc, 0, v39, vcc
	v_cmp_lt_u64_e32 vcc, v[10:11], v[8:9]
	s_and_saveexec_b64 s[78:79], vcc
	s_cbranch_execz .LBB2_951
; %bb.940:                              ;   in Loop: Header=BB2_938 Depth=3
	v_and_b32_e32 v0, 64, v60
	s_mov_b32 s50, 0
	v_cmp_eq_u32_e32 vcc, 0, v0
	s_mov_b64 s[88:89], 0
                                        ; implicit-def: $sgpr90_sgpr91
                                        ; implicit-def: $sgpr92_sgpr93
                                        ; implicit-def: $sgpr94_sgpr95
	s_branch .LBB2_944
.LBB2_941:                              ;   in Loop: Header=BB2_944 Depth=4
	s_waitcnt vmcnt(0) lgkmcnt(0)
	v_add_co_u32_e64 v10, s[26:27], v26, v48
	v_addc_co_u32_e64 v11, s[26:27], 0, v27, s[26:27]
	v_cmp_ge_u64_e64 s[26:27], v[10:11], v[8:9]
	s_or_b64 s[36:37], s[36:37], exec
	s_orn2_b64 s[34:35], s[26:27], exec
.LBB2_942:                              ;   in Loop: Header=BB2_944 Depth=4
	s_or_b64 exec, exec, s[48:49]
	s_andn2_b64 s[26:27], s[94:95], exec
	s_and_b64 s[94:95], s[36:37], exec
	s_or_b64 s[94:95], s[26:27], s[94:95]
	s_andn2_b64 s[26:27], s[92:93], exec
	s_and_b64 s[92:93], s[34:35], exec
	s_or_b64 s[92:93], s[26:27], s[92:93]
.LBB2_943:                              ;   in Loop: Header=BB2_944 Depth=4
	s_or_b64 exec, exec, s[30:31]
	s_and_b64 s[26:27], exec, s[92:93]
	s_or_b64 s[88:89], s[26:27], s[88:89]
	s_andn2_b64 s[26:27], s[90:91], exec
	s_and_b64 s[90:91], s[94:95], exec
	s_or_b64 s[90:91], s[26:27], s[90:91]
	s_andn2_b64 exec, exec, s[88:89]
	s_cbranch_execz .LBB2_948
.LBB2_944:                              ;   Parent Loop BB2_47 Depth=1
                                        ;     Parent Loop BB2_753 Depth=2
                                        ;       Parent Loop BB2_938 Depth=3
                                        ; =>      This Inner Loop Header: Depth=4
	s_sleep 1
	s_waitcnt vmcnt(0) lgkmcnt(0)
	flat_load_dwordx2 v[26:27], v[20:21] glc
	s_or_b64 s[94:95], s[94:95], exec
	s_or_b64 s[92:93], s[92:93], exec
                                        ; implicit-def: $vgpr0
	s_and_saveexec_b64 s[30:31], vcc
	s_cbranch_execz .LBB2_943
; %bb.945:                              ;   in Loop: Header=BB2_944 Depth=4
	s_cmpk_lt_i32 s50, 0x270f
	s_cselect_b64 s[38:39], -1, 0
	s_cmpk_gt_i32 s50, 0x270e
	s_mov_b64 s[34:35], -1
	s_cbranch_scc0 .LBB2_947
; %bb.946:                              ;   in Loop: Header=BB2_944 Depth=4
	s_trap 2
	ds_read_b64 v[10:11], v0
	s_andn2_b64 s[38:39], s[38:39], exec
	s_mov_b32 s50, 0
	s_mov_b64 s[36:37], 0
	s_waitcnt vmcnt(0) lgkmcnt(0)
	flat_load_dword v0, v[10:11] glc
	s_waitcnt vmcnt(0) lgkmcnt(0)
	buffer_wbinvl1_vol
	v_cmp_eq_u32_e64 s[26:27], 0, v0
	s_and_b64 s[26:27], s[26:27], exec
	s_or_b64 s[38:39], s[38:39], s[26:27]
	s_and_saveexec_b64 s[48:49], s[38:39]
	s_cbranch_execz .LBB2_942
	s_branch .LBB2_941
.LBB2_947:                              ;   in Loop: Header=BB2_944 Depth=4
	s_add_i32 s50, s50, 1
	s_mov_b64 s[36:37], -1
                                        ; implicit-def: $vgpr0
	s_and_saveexec_b64 s[48:49], s[38:39]
	s_cbranch_execz .LBB2_942
	s_branch .LBB2_941
.LBB2_948:                              ;   in Loop: Header=BB2_938 Depth=3
	s_or_b64 exec, exec, s[88:89]
	s_xor_b64 s[26:27], s[90:91], -1
	s_and_saveexec_b64 s[88:89], s[26:27]
	s_xor_b64 s[26:27], exec, s[88:89]
	s_cbranch_execz .LBB2_950
; %bb.949:                              ;   in Loop: Header=BB2_938 Depth=3
	v_or_b32_e32 v60, 64, v60
	s_waitcnt lgkmcnt(0)
	ds_write_b32 v0, v0
	s_trap 2
.LBB2_950:                              ;   in Loop: Header=BB2_938 Depth=3
	s_or_b64 exec, exec, s[26:27]
.LBB2_951:                              ;   in Loop: Header=BB2_938 Depth=3
	s_or_b64 exec, exec, s[78:79]
	v_and_b32_e32 v0, 0x108, v60
	v_cmp_ne_u32_e32 vcc, s54, v0
	;;#ASMSTART
	s_wakeup
	;;#ASMEND
                                        ; implicit-def: $vgpr10_vgpr11
	s_and_saveexec_b64 s[26:27], vcc
	s_xor_b64 s[26:27], exec, s[26:27]
; %bb.952:                              ;   in Loop: Header=BB2_938 Depth=3
	v_and_b32_e32 v10, 7, v38
	v_mov_b32_e32 v11, v2
                                        ; implicit-def: $vgpr38_vgpr39
; %bb.953:                              ;   in Loop: Header=BB2_938 Depth=3
	s_andn2_saveexec_b64 s[26:27], s[26:27]
	s_cbranch_execz .LBB2_955
; %bb.954:                              ;   in Loop: Header=BB2_938 Depth=3
	v_and_b32_e32 v10, 7, v38
	v_mad_u64_u32 v[14:15], s[78:79], v10, 24, v[34:35]
	v_ashrrev_i32_e32 v53, 31, v52
	v_lshlrev_b64 v[16:17], 2, v[52:53]
	v_mov_b32_e32 v11, v2
	flat_store_dwordx2 v[14:15], v[16:17] offset:8
.LBB2_955:                              ;   in Loop: Header=BB2_938 Depth=3
	s_or_b64 exec, exec, s[26:27]
	v_and_b32_e32 v0, 0x100, v60
	v_cmp_ne_u32_e32 vcc, 0, v0
	s_mov_b64 s[26:27], -1
                                        ; implicit-def: $vgpr38_vgpr39
	s_and_saveexec_b64 s[78:79], vcc
	s_cbranch_execz .LBB2_959
; %bb.956:                              ;   in Loop: Header=BB2_938 Depth=3
	v_mad_u64_u32 v[40:41], s[26:27], v10, 24, v[34:35]
                                        ; implicit-def: $vgpr38_vgpr39
	v_mov_b32_e32 v0, v41
	v_mad_u64_u32 v[14:15], s[26:27], v11, 24, v[0:1]
	v_mov_b32_e32 v41, v14
	flat_load_dword v0, v[40:41]
	s_waitcnt vmcnt(0) lgkmcnt(0)
	v_cmp_ne_u32_e32 vcc, 1, v0
	v_cmp_eq_u32_e64 s[26:27], 1, v0
	s_and_saveexec_b64 s[88:89], s[26:27]
	s_cbranch_execz .LBB2_958
; %bb.957:                              ;   in Loop: Header=BB2_938 Depth=3
	flat_load_dword v14, v[40:41] offset:4 glc
	s_waitcnt vmcnt(0) lgkmcnt(0)
	v_ashrrev_i32_e32 v15, 31, v14
	v_lshrrev_b64 v[38:39], 2, v[14:15]
.LBB2_958:                              ;   in Loop: Header=BB2_938 Depth=3
	s_or_b64 exec, exec, s[88:89]
	s_orn2_b64 s[26:27], vcc, exec
.LBB2_959:                              ;   in Loop: Header=BB2_938 Depth=3
	s_or_b64 exec, exec, s[78:79]
	s_and_saveexec_b64 s[78:79], s[26:27]
	s_cbranch_execz .LBB2_961
; %bb.960:                              ;   in Loop: Header=BB2_938 Depth=3
	v_mul_lo_u32 v0, v11, v61
	v_mul_lo_u32 v11, v10, v57
	v_mad_u64_u32 v[38:39], s[26:27], v10, v61, 0
	v_add3_u32 v39, v39, v11, v0
.LBB2_961:                              ;   in Loop: Header=BB2_938 Depth=3
	s_or_b64 exec, exec, s[78:79]
	v_lshlrev_b64 v[10:11], 2, v[38:39]
	v_cmp_eq_u32_e32 vcc, 0, v48
	v_mov_b32_e32 v0, 0x88
	v_cndmask_b32_e32 v0, v56, v0, vcc
	v_add_co_u32_e32 v10, vcc, v6, v10
	v_addc_co_u32_e32 v11, vcc, v7, v11, vcc
	v_add_u32_e32 v0, v0, v0
	ds_write_b64 v0, v[10:11] offset:584
	v_and_b32_e32 v0, 0x2000, v60
	v_cmp_ne_u32_e32 vcc, 0, v0
	s_and_saveexec_b64 s[26:27], vcc
	s_cbranch_execz .LBB2_963
; %bb.962:                              ;   in Loop: Header=BB2_938 Depth=3
	ds_read_b64 v[10:11], v0 offset:872
	s_waitcnt lgkmcnt(0)
	v_add_co_u32_e32 v10, vcc, 1, v10
	v_addc_co_u32_e32 v11, vcc, 0, v11, vcc
	ds_write_b64 v0, v[10:11] offset:872
.LBB2_963:                              ;   in Loop: Header=BB2_938 Depth=3
	s_or_b64 exec, exec, s[26:27]
	v_mov_b32_e32 v39, v9
	v_mov_b32_e32 v38, v8
.LBB2_964:                              ;   in Loop: Header=BB2_938 Depth=3
	s_or_b64 exec, exec, s[76:77]
	s_xor_b64 s[26:27], s[42:43], -1
	s_and_b64 s[26:27], exec, s[26:27]
	s_or_b64 s[40:41], s[26:27], s[40:41]
	s_and_saveexec_b64 s[26:27], s[10:11]
	s_cbranch_execz .LBB2_983
; %bb.965:                              ;   in Loop: Header=BB2_938 Depth=3
	s_and_saveexec_b64 s[42:43], s[56:57]
	s_xor_b64 s[42:43], exec, s[42:43]
	s_cbranch_execz .LBB2_980
; %bb.966:                              ;   in Loop: Header=BB2_938 Depth=3
	s_and_saveexec_b64 s[76:77], s[16:17]
	s_cbranch_execz .LBB2_979
; %bb.967:                              ;   in Loop: Header=BB2_938 Depth=3
	s_mov_b64 s[88:89], exec
	v_mbcnt_lo_u32_b32 v0, s88, 0
	v_mbcnt_hi_u32_b32 v0, s89, v0
	v_cmp_eq_u32_e32 vcc, 0, v0
	s_waitcnt vmcnt(0) lgkmcnt(0)
	buffer_wbinvl1_vol
	s_and_saveexec_b64 s[78:79], vcc
	s_cbranch_execz .LBB2_969
; %bb.968:                              ;   in Loop: Header=BB2_938 Depth=3
	s_bcnt1_i32_b64 s88, s[88:89]
	v_mov_b32_e32 v8, s88
	v_mov_b32_e32 v9, v2
	ds_add_u64 v0, v[8:9]
	s_trap 2
.LBB2_969:                              ;   in Loop: Header=BB2_938 Depth=3
	s_or_b64 exec, exec, s[78:79]
	s_trap 2
	ds_read_b64 v[8:9], v0
	s_waitcnt lgkmcnt(0)
	v_add_co_u32_e32 v12, vcc, v12, v62
	v_addc_co_u32_e32 v13, vcc, 0, v13, vcc
	v_cmp_lt_u64_e32 vcc, v[8:9], v[12:13]
	s_and_saveexec_b64 s[78:79], vcc
	s_cbranch_execz .LBB2_978
; %bb.970:                              ;   in Loop: Header=BB2_938 Depth=3
	s_mov_b32 s34, 0
	s_mov_b64 s[88:89], 0
                                        ; implicit-def: $sgpr90_sgpr91
                                        ; implicit-def: $sgpr92_sgpr93
	s_branch .LBB2_972
.LBB2_971:                              ;   in Loop: Header=BB2_972 Depth=4
	s_or_b64 exec, exec, s[30:31]
	s_and_b64 s[94:95], exec, vcc
	s_or_b64 s[88:89], s[94:95], s[88:89]
	s_andn2_b64 s[90:91], s[90:91], exec
	s_and_b64 s[94:95], s[92:93], exec
	s_or_b64 s[90:91], s[90:91], s[94:95]
	s_andn2_b64 exec, exec, s[88:89]
	s_cbranch_execz .LBB2_976
.LBB2_972:                              ;   Parent Loop BB2_47 Depth=1
                                        ;     Parent Loop BB2_753 Depth=2
                                        ;       Parent Loop BB2_938 Depth=3
                                        ; =>      This Inner Loop Header: Depth=4
	s_add_i32 s34, s34, 1
	s_cmpk_lg_i32 s34, 0x2710
	s_cselect_b64 s[94:95], -1, 0
	s_and_b64 vcc, exec, s[94:95]
	s_cbranch_vccz .LBB2_974
; %bb.973:                              ;   in Loop: Header=BB2_972 Depth=4
	s_mov_b64 vcc, -1
	s_or_b64 s[92:93], s[92:93], exec
	s_and_saveexec_b64 s[30:31], s[94:95]
	s_cbranch_execz .LBB2_971
	s_branch .LBB2_975
.LBB2_974:                              ;   in Loop: Header=BB2_972 Depth=4
	s_trap 2
	ds_read_b64 v[8:9], v0
	s_andn2_b64 s[94:95], s[94:95], exec
	s_mov_b32 s34, 0
	s_waitcnt lgkmcnt(0)
	flat_load_dword v0, v[8:9] glc
	s_waitcnt vmcnt(0) lgkmcnt(0)
	buffer_wbinvl1_vol
	v_cmp_eq_u32_e32 vcc, 0, v0
	s_and_b64 vcc, vcc, exec
	s_or_b64 s[94:95], s[94:95], vcc
	s_mov_b64 vcc, -1
	s_or_b64 s[92:93], s[92:93], exec
	s_and_saveexec_b64 s[30:31], s[94:95]
	s_cbranch_execz .LBB2_971
.LBB2_975:                              ;   in Loop: Header=BB2_972 Depth=4
	s_sleep 1
	s_trap 2
	ds_read_b64 v[8:9], v0
	s_waitcnt lgkmcnt(0)
	s_andn2_b64 s[92:93], s[92:93], exec
	v_cmp_ge_u64_e32 vcc, v[8:9], v[12:13]
	s_orn2_b64 vcc, vcc, exec
	s_branch .LBB2_971
.LBB2_976:                              ;   in Loop: Header=BB2_938 Depth=3
	s_or_b64 exec, exec, s[88:89]
	s_and_saveexec_b64 s[88:89], s[90:91]
	s_xor_b64 s[88:89], exec, s[88:89]
	s_cbranch_execz .LBB2_978
; %bb.977:                              ;   in Loop: Header=BB2_938 Depth=3
	ds_write_b32 v0, v28
	s_trap 2
.LBB2_978:                              ;   in Loop: Header=BB2_938 Depth=3
	s_or_b64 exec, exec, s[78:79]
	;;#ASMSTART
	s_wakeup
	;;#ASMEND
.LBB2_979:                              ;   in Loop: Header=BB2_938 Depth=3
	s_or_b64 exec, exec, s[76:77]
.LBB2_980:                              ;   in Loop: Header=BB2_938 Depth=3
	s_andn2_saveexec_b64 s[42:43], s[42:43]
	s_cbranch_execz .LBB2_982
; %bb.981:                              ;   in Loop: Header=BB2_938 Depth=3
	s_waitcnt vmcnt(0) lgkmcnt(0)
	buffer_wbinvl1_vol
	s_barrier
.LBB2_982:                              ;   in Loop: Header=BB2_938 Depth=3
	s_or_b64 exec, exec, s[42:43]
.LBB2_983:                              ;   in Loop: Header=BB2_938 Depth=3
	s_or_b64 exec, exec, s[26:27]
	v_and_b32_e32 v0, 16, v60
	s_and_saveexec_b64 s[26:27], s[24:25]
	s_xor_b64 s[26:27], exec, s[26:27]
	s_cbranch_execz .LBB2_987
; %bb.984:                              ;   in Loop: Header=BB2_938 Depth=3
	s_trap 2
	ds_read_b32 v0, v0
	v_cmp_lt_i32_e32 vcc, 0, v52
	s_waitcnt vmcnt(0)
	v_and_b32_e32 v8, 16, v60
	s_waitcnt lgkmcnt(0)
	v_readfirstlane_b32 s42, v0
	s_cmp_eq_u32 s42, 0
	s_cselect_b64 s[42:43], -1, 0
	s_and_b64 s[42:43], vcc, s[42:43]
	v_cmp_ne_u32_e32 vcc, 0, v8
	v_and_b32_e32 v0, 16, v60
	s_and_b64 s[76:77], vcc, s[42:43]
	s_and_saveexec_b64 s[42:43], s[76:77]
	s_cbranch_execz .LBB2_986
; %bb.985:                              ;   in Loop: Header=BB2_938 Depth=3
	v_mov_b32_e32 v0, 1
	buffer_wbinvl1_vol
.LBB2_986:                              ;   in Loop: Header=BB2_938 Depth=3
	s_or_b64 exec, exec, s[42:43]
.LBB2_987:                              ;   in Loop: Header=BB2_938 Depth=3
	s_andn2_saveexec_b64 s[26:27], s[26:27]
	s_cbranch_execz .LBB2_1006
; %bb.988:                              ;   in Loop: Header=BB2_938 Depth=3
	s_and_saveexec_b64 s[42:43], s[56:57]
	s_xor_b64 s[42:43], exec, s[42:43]
	s_cbranch_execz .LBB2_1003
; %bb.989:                              ;   in Loop: Header=BB2_938 Depth=3
	s_and_saveexec_b64 s[76:77], s[16:17]
	s_cbranch_execz .LBB2_1002
; %bb.990:                              ;   in Loop: Header=BB2_938 Depth=3
	s_mov_b64 s[88:89], exec
	s_waitcnt vmcnt(0)
	v_mbcnt_lo_u32_b32 v8, s88, 0
	v_mbcnt_hi_u32_b32 v8, s89, v8
	v_cmp_eq_u32_e32 vcc, 0, v8
	;;#ASMSTART
	s_waitcnt lgkmcnt(0) vmcnt(0)
	;;#ASMEND
	s_and_saveexec_b64 s[78:79], vcc
	s_cbranch_execz .LBB2_992
; %bb.991:                              ;   in Loop: Header=BB2_938 Depth=3
	s_bcnt1_i32_b64 s88, s[88:89]
	v_mov_b32_e32 v8, s88
	v_mov_b32_e32 v9, v2
	s_waitcnt lgkmcnt(0)
	ds_add_u64 v0, v[8:9]
	s_trap 2
.LBB2_992:                              ;   in Loop: Header=BB2_938 Depth=3
	s_or_b64 exec, exec, s[78:79]
	s_trap 2
	ds_read_b64 v[8:9], v0
	s_waitcnt lgkmcnt(0)
	v_add_co_u32_e32 v12, vcc, v12, v62
	v_addc_co_u32_e32 v13, vcc, 0, v13, vcc
	v_cmp_lt_u64_e32 vcc, v[8:9], v[12:13]
	s_and_saveexec_b64 s[78:79], vcc
	s_cbranch_execz .LBB2_1001
; %bb.993:                              ;   in Loop: Header=BB2_938 Depth=3
	s_mov_b32 s34, 0
	s_mov_b64 s[88:89], 0
                                        ; implicit-def: $sgpr90_sgpr91
                                        ; implicit-def: $sgpr92_sgpr93
	s_branch .LBB2_995
.LBB2_994:                              ;   in Loop: Header=BB2_995 Depth=4
	s_or_b64 exec, exec, s[30:31]
	s_and_b64 s[94:95], exec, vcc
	s_or_b64 s[88:89], s[94:95], s[88:89]
	s_andn2_b64 s[90:91], s[90:91], exec
	s_and_b64 s[94:95], s[92:93], exec
	s_or_b64 s[90:91], s[90:91], s[94:95]
	s_andn2_b64 exec, exec, s[88:89]
	s_cbranch_execz .LBB2_999
.LBB2_995:                              ;   Parent Loop BB2_47 Depth=1
                                        ;     Parent Loop BB2_753 Depth=2
                                        ;       Parent Loop BB2_938 Depth=3
                                        ; =>      This Inner Loop Header: Depth=4
	s_add_i32 s34, s34, 1
	s_cmpk_lg_i32 s34, 0x2710
	s_cselect_b64 s[94:95], -1, 0
	s_and_b64 vcc, exec, s[94:95]
	s_cbranch_vccz .LBB2_997
; %bb.996:                              ;   in Loop: Header=BB2_995 Depth=4
	s_mov_b64 vcc, -1
	s_or_b64 s[92:93], s[92:93], exec
	s_and_saveexec_b64 s[30:31], s[94:95]
	s_cbranch_execz .LBB2_994
	s_branch .LBB2_998
.LBB2_997:                              ;   in Loop: Header=BB2_995 Depth=4
	s_trap 2
	ds_read_b64 v[8:9], v0
	s_andn2_b64 s[94:95], s[94:95], exec
	s_mov_b32 s34, 0
	s_waitcnt lgkmcnt(0)
	flat_load_dword v8, v[8:9] glc
	s_waitcnt vmcnt(0) lgkmcnt(0)
	buffer_wbinvl1_vol
	v_cmp_eq_u32_e32 vcc, 0, v8
	s_and_b64 vcc, vcc, exec
	s_or_b64 s[94:95], s[94:95], vcc
	s_mov_b64 vcc, -1
	s_or_b64 s[92:93], s[92:93], exec
	s_and_saveexec_b64 s[30:31], s[94:95]
	s_cbranch_execz .LBB2_994
.LBB2_998:                              ;   in Loop: Header=BB2_995 Depth=4
	s_sleep 1
	s_trap 2
	ds_read_b64 v[8:9], v0
	s_waitcnt lgkmcnt(0)
	s_andn2_b64 s[92:93], s[92:93], exec
	v_cmp_ge_u64_e32 vcc, v[8:9], v[12:13]
	s_orn2_b64 vcc, vcc, exec
	s_branch .LBB2_994
.LBB2_999:                              ;   in Loop: Header=BB2_938 Depth=3
	s_or_b64 exec, exec, s[88:89]
	s_and_saveexec_b64 s[88:89], s[90:91]
	s_xor_b64 s[88:89], exec, s[88:89]
	s_cbranch_execz .LBB2_1001
; %bb.1000:                             ;   in Loop: Header=BB2_938 Depth=3
	ds_write_b32 v0, v28
	s_trap 2
.LBB2_1001:                             ;   in Loop: Header=BB2_938 Depth=3
	s_or_b64 exec, exec, s[78:79]
	;;#ASMSTART
	s_wakeup
	;;#ASMEND
.LBB2_1002:                             ;   in Loop: Header=BB2_938 Depth=3
	s_or_b64 exec, exec, s[76:77]
.LBB2_1003:                             ;   in Loop: Header=BB2_938 Depth=3
	s_andn2_saveexec_b64 s[42:43], s[42:43]
	s_cbranch_execz .LBB2_1005
; %bb.1004:                             ;   in Loop: Header=BB2_938 Depth=3
	;;#ASMSTART
	s_waitcnt lgkmcnt(0) vmcnt(0)
	;;#ASMEND
	s_waitcnt vmcnt(0) lgkmcnt(0)
	s_barrier
.LBB2_1005:                             ;   in Loop: Header=BB2_938 Depth=3
	s_or_b64 exec, exec, s[42:43]
.LBB2_1006:                             ;   in Loop: Header=BB2_938 Depth=3
	s_or_b64 exec, exec, s[26:27]
	v_cmp_ne_u32_e32 vcc, 0, v0
	s_xor_b64 s[26:27], s[12:13], -1
	s_and_b64 s[42:43], vcc, s[26:27]
	s_and_saveexec_b64 s[26:27], s[42:43]
	s_cbranch_execz .LBB2_1008
; %bb.1007:                             ;   in Loop: Header=BB2_938 Depth=3
	s_waitcnt vmcnt(0)
	flat_store_dword v[24:25], v28
.LBB2_1008:                             ;   in Loop: Header=BB2_938 Depth=3
	s_or_b64 exec, exec, s[26:27]
	v_and_b32_e32 v0, 48, v60
	v_cmp_ne_u32_e32 vcc, 0, v0
	s_and_saveexec_b64 s[26:27], vcc
	s_cbranch_execz .LBB2_937
; %bb.1009:                             ;   in Loop: Header=BB2_938 Depth=3
	v_add_co_u32_e32 v38, vcc, 2, v38
	v_addc_co_u32_e32 v39, vcc, 0, v39, vcc
	flat_store_dwordx2 v[20:21], v[38:39]
	s_branch .LBB2_937
.LBB2_1010:                             ;   in Loop: Header=BB2_753 Depth=2
	s_or_b64 exec, exec, s[76:77]
	s_or_b64 exec, exec, s[42:43]
	v_cmp_gt_i32_e32 vcc, 2, v0
	s_and_saveexec_b64 s[28:29], vcc
	s_cbranch_execnz .LBB2_936
.LBB2_1011:                             ;   in Loop: Header=BB2_753 Depth=2
	s_or_b64 exec, exec, s[28:29]
	s_add_i32 s26, s75, 1
	s_cmp_eq_u32 s75, s69
	s_cbranch_scc0 .LBB2_1013
	s_branch .LBB2_1014
.LBB2_1012:                             ;   in Loop: Header=BB2_753 Depth=2
	s_or_b64 exec, exec, s[40:41]
	s_or_b64 exec, exec, s[28:29]
	s_add_i32 s26, s75, 1
	s_cmp_eq_u32 s75, s69
	s_cbranch_scc1 .LBB2_1014
.LBB2_1013:                             ;   in Loop: Header=BB2_753 Depth=2
	s_mov_b32 s75, s26
	s_branch .LBB2_753
.LBB2_1014:                             ;   in Loop: Header=BB2_47 Depth=1
	buffer_load_dword v16, off, s[0:3], s33 offset:116 ; 4-byte Folded Reload
	buffer_load_dword v17, off, s[0:3], s33 offset:120 ; 4-byte Folded Reload
	;; [unrolled: 1-line block ×4, first 2 shown]
	s_waitcnt vmcnt(0)
	v_mul_lo_u32 v3, v16, s71
	v_mul_lo_u32 v0, v17, s70
	v_mad_u64_u32 v[9:10], s[26:27], v16, s70, 0
	v_sub_co_u32_e32 v14, vcc, v14, v9
	v_add3_u32 v10, v10, v3, v0
	v_subb_co_u32_e32 v15, vcc, v15, v10, vcc
	v_cmp_lt_i64_e32 vcc, v[16:17], v[14:15]
	v_mov_b32_e32 v0, 0
	v_cndmask_b32_e32 v8, v14, v16, vcc
	v_max_i32_e32 v3, 0, v8
	v_add_u32_e32 v11, 31, v3
	v_lshrrev_b32_e32 v11, 1, v11
	v_and_b32_e32 v11, 0x3ffffff0, v11
	v_cmp_lt_i32_e32 vcc, 0, v8
	v_max_i32_e32 v54, s68, v11
	s_and_b64 s[26:27], s[72:73], vcc
	v_mov_b32_e32 v8, 0
	s_and_saveexec_b64 s[28:29], s[26:27]
	s_cbranch_execz .LBB2_1155
; %bb.1015:                             ;   in Loop: Header=BB2_47 Depth=1
	v_add_co_u32_e32 v9, vcc, v9, v22
	v_addc_co_u32_e32 v10, vcc, v10, v23, vcc
	v_lshlrev_b64 v[10:11], 2, v[9:10]
	s_mov_b32 s75, 1
	s_mov_b64 s[42:43], -1
	v_mov_b32_e32 v8, 0
	s_mov_b64 s[40:41], 0
	s_branch .LBB2_1017
.LBB2_1016:                             ;   in Loop: Header=BB2_1017 Depth=2
	s_or_b64 exec, exec, s[26:27]
	v_add_u32_e32 v8, v54, v8
	v_cmp_ge_i32_e32 vcc, v8, v3
	s_xor_b64 s[26:27], s[42:43], -1
	s_or_b64 s[26:27], s[26:27], vcc
	s_and_b64 s[26:27], exec, s[26:27]
	s_or_b64 s[40:41], s[26:27], s[40:41]
	s_mov_b64 s[42:43], 0
	v_mov_b32_e32 v0, s75
	s_mov_b32 s75, 2
	s_andn2_b64 exec, exec, s[40:41]
	s_cbranch_execz .LBB2_1154
.LBB2_1017:                             ;   Parent Loop BB2_47 Depth=1
                                        ; =>  This Loop Header: Depth=2
                                        ;       Child Loop BB2_1025 Depth 3
                                        ;       Child Loop BB2_1049 Depth 3
	;; [unrolled: 1-line block ×9, first 2 shown]
	s_and_saveexec_b64 s[26:27], s[4:5]
	s_cbranch_execz .LBB2_1019
; %bb.1018:                             ;   in Loop: Header=BB2_1017 Depth=2
	s_trap 2
	ds_read_b128 v[14:17], v0
	v_ashrrev_i32_e32 v9, 31, v8
	s_waitcnt lgkmcnt(0)
	v_add_co_u32_e32 v0, vcc, v14, v10
	v_addc_co_u32_e32 v19, vcc, v15, v11, vcc
	v_lshlrev_b64 v[14:15], 2, v[8:9]
	s_waitcnt vmcnt(0)
	v_add_co_u32_e32 v18, vcc, v0, v14
	v_addc_co_u32_e32 v19, vcc, v19, v15, vcc
	ds_write_b64 v0, v[18:19]
	v_add_co_u32_e32 v0, vcc, v16, v10
	v_addc_co_u32_e32 v9, vcc, v17, v11, vcc
	v_add_co_u32_e32 v0, vcc, v0, v14
	v_addc_co_u32_e32 v9, vcc, v9, v15, vcc
	v_cmp_ne_u64_e32 vcc, 0, v[16:17]
	v_cndmask_b32_e32 v15, 0, v9, vcc
	v_cndmask_b32_e32 v14, 0, v0, vcc
	ds_write_b64 v0, v[14:15]
.LBB2_1019:                             ;   in Loop: Header=BB2_1017 Depth=2
	s_or_b64 exec, exec, s[26:27]
	v_and_b32_e32 v0, 4, v60
	v_cmp_ne_u32_e32 vcc, 0, v0
	s_and_saveexec_b64 s[76:77], vcc
	s_cbranch_execz .LBB2_1041
; %bb.1020:                             ;   in Loop: Header=BB2_1017 Depth=2
	v_add_co_u32_e32 v48, vcc, 2, v38
	v_addc_co_u32_e32 v49, vcc, 0, v39, vcc
	s_waitcnt vmcnt(0) lgkmcnt(0)
	v_cmp_lt_u64_e32 vcc, v[26:27], v[48:49]
	s_and_saveexec_b64 s[78:79], vcc
	s_cbranch_execz .LBB2_1032
; %bb.1021:                             ;   in Loop: Header=BB2_1017 Depth=2
	v_and_b32_e32 v0, 64, v60
	s_mov_b32 s50, 0
	v_cmp_eq_u32_e32 vcc, 0, v0
	s_mov_b64 s[88:89], 0
                                        ; implicit-def: $sgpr90_sgpr91
                                        ; implicit-def: $sgpr92_sgpr93
                                        ; implicit-def: $sgpr94_sgpr95
	s_branch .LBB2_1025
.LBB2_1022:                             ;   in Loop: Header=BB2_1025 Depth=3
	s_waitcnt vmcnt(0) lgkmcnt(0)
	v_cmp_ge_u64_e64 s[26:27], v[26:27], v[48:49]
	s_or_b64 s[36:37], s[36:37], exec
	s_orn2_b64 s[34:35], s[26:27], exec
.LBB2_1023:                             ;   in Loop: Header=BB2_1025 Depth=3
	s_or_b64 exec, exec, s[48:49]
	s_andn2_b64 s[26:27], s[94:95], exec
	s_and_b64 s[94:95], s[36:37], exec
	s_or_b64 s[94:95], s[26:27], s[94:95]
	s_andn2_b64 s[26:27], s[92:93], exec
	s_and_b64 s[92:93], s[34:35], exec
	s_or_b64 s[92:93], s[26:27], s[92:93]
.LBB2_1024:                             ;   in Loop: Header=BB2_1025 Depth=3
	s_or_b64 exec, exec, s[30:31]
	s_and_b64 s[26:27], exec, s[92:93]
	s_or_b64 s[88:89], s[26:27], s[88:89]
	s_andn2_b64 s[26:27], s[90:91], exec
	s_and_b64 s[90:91], s[94:95], exec
	s_or_b64 s[90:91], s[26:27], s[90:91]
	s_andn2_b64 exec, exec, s[88:89]
	s_cbranch_execz .LBB2_1029
.LBB2_1025:                             ;   Parent Loop BB2_47 Depth=1
                                        ;     Parent Loop BB2_1017 Depth=2
                                        ; =>    This Inner Loop Header: Depth=3
	s_sleep 1
	s_waitcnt vmcnt(0) lgkmcnt(0)
	flat_load_dwordx2 v[26:27], v[20:21] glc
	s_or_b64 s[94:95], s[94:95], exec
	s_or_b64 s[92:93], s[92:93], exec
                                        ; implicit-def: $vgpr0
	s_and_saveexec_b64 s[30:31], vcc
	s_cbranch_execz .LBB2_1024
; %bb.1026:                             ;   in Loop: Header=BB2_1025 Depth=3
	s_cmpk_lt_i32 s50, 0x270f
	s_cselect_b64 s[38:39], -1, 0
	s_cmpk_gt_i32 s50, 0x270e
	s_mov_b64 s[34:35], -1
	s_cbranch_scc0 .LBB2_1028
; %bb.1027:                             ;   in Loop: Header=BB2_1025 Depth=3
	s_trap 2
	ds_read_b64 v[14:15], v0
	s_andn2_b64 s[38:39], s[38:39], exec
	s_mov_b32 s50, 0
	s_mov_b64 s[36:37], 0
	s_waitcnt vmcnt(0) lgkmcnt(0)
	flat_load_dword v0, v[14:15] glc
	s_waitcnt vmcnt(0) lgkmcnt(0)
	buffer_wbinvl1_vol
	v_cmp_eq_u32_e64 s[26:27], 0, v0
	s_and_b64 s[26:27], s[26:27], exec
	s_or_b64 s[38:39], s[38:39], s[26:27]
	s_and_saveexec_b64 s[48:49], s[38:39]
	s_cbranch_execz .LBB2_1023
	s_branch .LBB2_1022
.LBB2_1028:                             ;   in Loop: Header=BB2_1025 Depth=3
	s_add_i32 s50, s50, 1
	s_mov_b64 s[36:37], -1
                                        ; implicit-def: $vgpr0
	s_and_saveexec_b64 s[48:49], s[38:39]
	s_cbranch_execz .LBB2_1023
	s_branch .LBB2_1022
.LBB2_1029:                             ;   in Loop: Header=BB2_1017 Depth=2
	s_or_b64 exec, exec, s[88:89]
	s_xor_b64 s[26:27], s[90:91], -1
	s_and_saveexec_b64 s[88:89], s[26:27]
	s_xor_b64 s[26:27], exec, s[88:89]
	s_cbranch_execz .LBB2_1031
; %bb.1030:                             ;   in Loop: Header=BB2_1017 Depth=2
	v_or_b32_e32 v60, 64, v60
	s_waitcnt lgkmcnt(0)
	ds_write_b32 v0, v0
	s_trap 2
.LBB2_1031:                             ;   in Loop: Header=BB2_1017 Depth=2
	s_or_b64 exec, exec, s[26:27]
.LBB2_1032:                             ;   in Loop: Header=BB2_1017 Depth=2
	s_or_b64 exec, exec, s[78:79]
	v_and_b32_e32 v0, 0x100, v60
	v_cmp_ne_u32_e32 vcc, 0, v0
	v_and_b32_e32 v0, 7, v38
	s_mov_b64 s[26:27], -1
	;;#ASMSTART
	s_wakeup
	;;#ASMEND
                                        ; implicit-def: $vgpr38_vgpr39
	s_and_saveexec_b64 s[78:79], vcc
	s_cbranch_execz .LBB2_1036
; %bb.1033:                             ;   in Loop: Header=BB2_1017 Depth=2
	v_mad_u64_u32 v[50:51], s[26:27], v0, 24, v[34:35]
                                        ; implicit-def: $vgpr38_vgpr39
	flat_load_dword v9, v[50:51]
	s_waitcnt vmcnt(0) lgkmcnt(0)
	v_cmp_ne_u32_e32 vcc, 1, v9
	v_cmp_eq_u32_e64 s[26:27], 1, v9
	s_and_saveexec_b64 s[88:89], s[26:27]
	s_cbranch_execz .LBB2_1035
; %bb.1034:                             ;   in Loop: Header=BB2_1017 Depth=2
	flat_load_dword v14, v[50:51] offset:4 glc
	s_waitcnt vmcnt(0) lgkmcnt(0)
	v_ashrrev_i32_e32 v15, 31, v14
	v_lshrrev_b64 v[38:39], 2, v[14:15]
.LBB2_1035:                             ;   in Loop: Header=BB2_1017 Depth=2
	s_or_b64 exec, exec, s[88:89]
	buffer_load_dword v50, off, s[0:3], s33 offset:100 ; 4-byte Folded Reload
	s_orn2_b64 s[26:27], vcc, exec
	v_mov_b32_e32 v51, 0xc8
.LBB2_1036:                             ;   in Loop: Header=BB2_1017 Depth=2
	s_or_b64 exec, exec, s[78:79]
	s_and_saveexec_b64 s[78:79], s[26:27]
; %bb.1037:                             ;   in Loop: Header=BB2_1017 Depth=2
	v_mad_i64_i32 v[38:39], s[26:27], v0, v61, 0
; %bb.1038:                             ;   in Loop: Header=BB2_1017 Depth=2
	s_or_b64 exec, exec, s[78:79]
	v_lshlrev_b64 v[14:15], 2, v[38:39]
	v_add_co_u32_e32 v14, vcc, v6, v14
	v_addc_co_u32_e32 v15, vcc, v7, v15, vcc
	ds_write_b64 v0, v[14:15] offset:720
	v_and_b32_e32 v0, 0x2000, v60
	v_cmp_ne_u32_e32 vcc, 0, v0
	s_and_saveexec_b64 s[26:27], vcc
	s_cbranch_execz .LBB2_1040
; %bb.1039:                             ;   in Loop: Header=BB2_1017 Depth=2
	ds_read_b64 v[14:15], v0 offset:872
	s_waitcnt lgkmcnt(0)
	v_add_co_u32_e32 v14, vcc, 1, v14
	v_addc_co_u32_e32 v15, vcc, 0, v15, vcc
	ds_write_b64 v0, v[14:15] offset:872
.LBB2_1040:                             ;   in Loop: Header=BB2_1017 Depth=2
	s_or_b64 exec, exec, s[26:27]
	v_mov_b32_e32 v38, v48
	v_mov_b32_e32 v39, v49
.LBB2_1041:                             ;   in Loop: Header=BB2_1017 Depth=2
	s_or_b64 exec, exec, s[76:77]
	s_and_saveexec_b64 s[26:27], s[10:11]
	s_cbranch_execz .LBB2_1060
; %bb.1042:                             ;   in Loop: Header=BB2_1017 Depth=2
	s_and_saveexec_b64 s[76:77], s[56:57]
	s_xor_b64 s[76:77], exec, s[76:77]
	s_cbranch_execz .LBB2_1057
; %bb.1043:                             ;   in Loop: Header=BB2_1017 Depth=2
	s_and_saveexec_b64 s[78:79], s[16:17]
	s_cbranch_execz .LBB2_1056
; %bb.1044:                             ;   in Loop: Header=BB2_1017 Depth=2
	s_mov_b64 s[90:91], exec
	v_mbcnt_lo_u32_b32 v0, s90, 0
	v_mbcnt_hi_u32_b32 v0, s91, v0
	v_cmp_eq_u32_e32 vcc, 0, v0
	s_waitcnt vmcnt(0) lgkmcnt(0)
	buffer_wbinvl1_vol
	s_and_saveexec_b64 s[88:89], vcc
	s_cbranch_execz .LBB2_1046
; %bb.1045:                             ;   in Loop: Header=BB2_1017 Depth=2
	s_bcnt1_i32_b64 s90, s[90:91]
	v_mov_b32_e32 v14, s90
	v_mov_b32_e32 v15, v2
	ds_add_u64 v0, v[14:15]
	s_trap 2
.LBB2_1046:                             ;   in Loop: Header=BB2_1017 Depth=2
	s_or_b64 exec, exec, s[88:89]
	s_trap 2
	ds_read_b64 v[14:15], v0
	s_waitcnt lgkmcnt(0)
	v_add_co_u32_e32 v12, vcc, v12, v62
	v_addc_co_u32_e32 v13, vcc, 0, v13, vcc
	v_cmp_lt_u64_e32 vcc, v[14:15], v[12:13]
	s_and_saveexec_b64 s[88:89], vcc
	s_cbranch_execz .LBB2_1055
; %bb.1047:                             ;   in Loop: Header=BB2_1017 Depth=2
	s_mov_b32 s36, 0
	s_mov_b64 s[90:91], 0
                                        ; implicit-def: $sgpr92_sgpr93
                                        ; implicit-def: $sgpr94_sgpr95
	s_branch .LBB2_1049
.LBB2_1048:                             ;   in Loop: Header=BB2_1049 Depth=3
	s_or_b64 exec, exec, s[34:35]
	s_and_b64 vcc, exec, vcc
	s_or_b64 s[90:91], vcc, s[90:91]
	s_andn2_b64 s[92:93], s[92:93], exec
	s_and_b64 vcc, s[94:95], exec
	s_or_b64 s[92:93], s[92:93], vcc
	s_andn2_b64 exec, exec, s[90:91]
	s_cbranch_execz .LBB2_1053
.LBB2_1049:                             ;   Parent Loop BB2_47 Depth=1
                                        ;     Parent Loop BB2_1017 Depth=2
                                        ; =>    This Inner Loop Header: Depth=3
	s_add_i32 s36, s36, 1
	s_cmpk_lg_i32 s36, 0x2710
	s_cselect_b64 s[30:31], -1, 0
	s_and_b64 vcc, exec, s[30:31]
	s_cbranch_vccz .LBB2_1051
; %bb.1050:                             ;   in Loop: Header=BB2_1049 Depth=3
	s_mov_b64 vcc, -1
	s_or_b64 s[94:95], s[94:95], exec
	s_and_saveexec_b64 s[34:35], s[30:31]
	s_cbranch_execz .LBB2_1048
	s_branch .LBB2_1052
.LBB2_1051:                             ;   in Loop: Header=BB2_1049 Depth=3
	s_trap 2
	ds_read_b64 v[14:15], v0
	s_andn2_b64 s[30:31], s[30:31], exec
	s_mov_b32 s36, 0
	s_waitcnt lgkmcnt(0)
	flat_load_dword v0, v[14:15] glc
	s_waitcnt vmcnt(0) lgkmcnt(0)
	buffer_wbinvl1_vol
	v_cmp_eq_u32_e32 vcc, 0, v0
	s_and_b64 vcc, vcc, exec
	s_or_b64 s[30:31], s[30:31], vcc
	s_mov_b64 vcc, -1
	s_or_b64 s[94:95], s[94:95], exec
	s_and_saveexec_b64 s[34:35], s[30:31]
	s_cbranch_execz .LBB2_1048
.LBB2_1052:                             ;   in Loop: Header=BB2_1049 Depth=3
	s_sleep 1
	s_trap 2
	ds_read_b64 v[14:15], v0
	s_waitcnt lgkmcnt(0)
	s_andn2_b64 s[94:95], s[94:95], exec
	v_cmp_ge_u64_e32 vcc, v[14:15], v[12:13]
	s_orn2_b64 vcc, vcc, exec
	s_branch .LBB2_1048
.LBB2_1053:                             ;   in Loop: Header=BB2_1017 Depth=2
	s_or_b64 exec, exec, s[90:91]
	s_and_saveexec_b64 s[90:91], s[92:93]
	s_xor_b64 s[90:91], exec, s[90:91]
	s_cbranch_execz .LBB2_1055
; %bb.1054:                             ;   in Loop: Header=BB2_1017 Depth=2
	ds_write_b32 v0, v28
	s_trap 2
.LBB2_1055:                             ;   in Loop: Header=BB2_1017 Depth=2
	s_or_b64 exec, exec, s[88:89]
	;;#ASMSTART
	s_wakeup
	;;#ASMEND
.LBB2_1056:                             ;   in Loop: Header=BB2_1017 Depth=2
	s_or_b64 exec, exec, s[78:79]
.LBB2_1057:                             ;   in Loop: Header=BB2_1017 Depth=2
	s_andn2_saveexec_b64 s[76:77], s[76:77]
	s_cbranch_execz .LBB2_1059
; %bb.1058:                             ;   in Loop: Header=BB2_1017 Depth=2
	s_waitcnt vmcnt(0) lgkmcnt(0)
	buffer_wbinvl1_vol
	s_barrier
.LBB2_1059:                             ;   in Loop: Header=BB2_1017 Depth=2
	s_or_b64 exec, exec, s[76:77]
.LBB2_1060:                             ;   in Loop: Header=BB2_1017 Depth=2
	s_or_b64 exec, exec, s[26:27]
	s_trap 2
	ds_read_b32 v9, v0
	v_and_b32_e32 v0, 0x4000, v60
	v_cmp_ne_u32_e32 vcc, 0, v0
	s_xor_b64 s[26:27], s[6:7], -1
	s_and_b64 s[76:77], s[26:27], vcc
	s_and_saveexec_b64 s[26:27], s[76:77]
	s_cbranch_execz .LBB2_1079
; %bb.1061:                             ;   in Loop: Header=BB2_1017 Depth=2
	s_and_saveexec_b64 s[76:77], s[56:57]
	s_xor_b64 s[76:77], exec, s[76:77]
	s_cbranch_execz .LBB2_1076
; %bb.1062:                             ;   in Loop: Header=BB2_1017 Depth=2
	s_and_saveexec_b64 s[78:79], s[16:17]
	s_cbranch_execz .LBB2_1075
; %bb.1063:                             ;   in Loop: Header=BB2_1017 Depth=2
	s_mov_b64 s[90:91], exec
	v_mbcnt_lo_u32_b32 v0, s90, 0
	v_mbcnt_hi_u32_b32 v0, s91, v0
	v_cmp_eq_u32_e32 vcc, 0, v0
	s_waitcnt vmcnt(0) lgkmcnt(0)
	buffer_wbinvl1_vol
	s_and_saveexec_b64 s[88:89], vcc
	s_cbranch_execz .LBB2_1065
; %bb.1064:                             ;   in Loop: Header=BB2_1017 Depth=2
	s_bcnt1_i32_b64 s90, s[90:91]
	v_mov_b32_e32 v14, s90
	v_mov_b32_e32 v15, v2
	ds_add_u64 v0, v[14:15]
	s_trap 2
.LBB2_1065:                             ;   in Loop: Header=BB2_1017 Depth=2
	s_or_b64 exec, exec, s[88:89]
	s_trap 2
	ds_read_b64 v[14:15], v0
	s_waitcnt lgkmcnt(0)
	v_add_co_u32_e32 v12, vcc, v12, v62
	v_addc_co_u32_e32 v13, vcc, 0, v13, vcc
	v_cmp_lt_u64_e32 vcc, v[14:15], v[12:13]
	s_and_saveexec_b64 s[88:89], vcc
	s_cbranch_execz .LBB2_1074
; %bb.1066:                             ;   in Loop: Header=BB2_1017 Depth=2
	s_mov_b32 s36, 0
	s_mov_b64 s[90:91], 0
                                        ; implicit-def: $sgpr92_sgpr93
                                        ; implicit-def: $sgpr94_sgpr95
	s_branch .LBB2_1068
.LBB2_1067:                             ;   in Loop: Header=BB2_1068 Depth=3
	s_or_b64 exec, exec, s[34:35]
	s_and_b64 vcc, exec, vcc
	s_or_b64 s[90:91], vcc, s[90:91]
	s_andn2_b64 s[92:93], s[92:93], exec
	s_and_b64 vcc, s[94:95], exec
	s_or_b64 s[92:93], s[92:93], vcc
	s_andn2_b64 exec, exec, s[90:91]
	s_cbranch_execz .LBB2_1072
.LBB2_1068:                             ;   Parent Loop BB2_47 Depth=1
                                        ;     Parent Loop BB2_1017 Depth=2
                                        ; =>    This Inner Loop Header: Depth=3
	s_add_i32 s36, s36, 1
	s_cmpk_lg_i32 s36, 0x2710
	s_cselect_b64 s[30:31], -1, 0
	s_and_b64 vcc, exec, s[30:31]
	s_cbranch_vccz .LBB2_1070
; %bb.1069:                             ;   in Loop: Header=BB2_1068 Depth=3
	s_mov_b64 vcc, -1
	s_or_b64 s[94:95], s[94:95], exec
	s_and_saveexec_b64 s[34:35], s[30:31]
	s_cbranch_execz .LBB2_1067
	s_branch .LBB2_1071
.LBB2_1070:                             ;   in Loop: Header=BB2_1068 Depth=3
	s_trap 2
	ds_read_b64 v[14:15], v0
	s_andn2_b64 s[30:31], s[30:31], exec
	s_mov_b32 s36, 0
	s_waitcnt lgkmcnt(0)
	flat_load_dword v0, v[14:15] glc
	s_waitcnt vmcnt(0) lgkmcnt(0)
	buffer_wbinvl1_vol
	v_cmp_eq_u32_e32 vcc, 0, v0
	s_and_b64 vcc, vcc, exec
	s_or_b64 s[30:31], s[30:31], vcc
	s_mov_b64 vcc, -1
	s_or_b64 s[94:95], s[94:95], exec
	s_and_saveexec_b64 s[34:35], s[30:31]
	s_cbranch_execz .LBB2_1067
.LBB2_1071:                             ;   in Loop: Header=BB2_1068 Depth=3
	s_sleep 1
	s_trap 2
	ds_read_b64 v[14:15], v0
	s_waitcnt lgkmcnt(0)
	s_andn2_b64 s[94:95], s[94:95], exec
	v_cmp_ge_u64_e32 vcc, v[14:15], v[12:13]
	s_orn2_b64 vcc, vcc, exec
	s_branch .LBB2_1067
.LBB2_1072:                             ;   in Loop: Header=BB2_1017 Depth=2
	s_or_b64 exec, exec, s[90:91]
	s_and_saveexec_b64 s[90:91], s[92:93]
	s_xor_b64 s[90:91], exec, s[90:91]
	s_cbranch_execz .LBB2_1074
; %bb.1073:                             ;   in Loop: Header=BB2_1017 Depth=2
	ds_write_b32 v0, v28
	s_trap 2
.LBB2_1074:                             ;   in Loop: Header=BB2_1017 Depth=2
	s_or_b64 exec, exec, s[88:89]
	;;#ASMSTART
	s_wakeup
	;;#ASMEND
.LBB2_1075:                             ;   in Loop: Header=BB2_1017 Depth=2
	s_or_b64 exec, exec, s[78:79]
.LBB2_1076:                             ;   in Loop: Header=BB2_1017 Depth=2
	s_andn2_saveexec_b64 s[76:77], s[76:77]
	s_cbranch_execz .LBB2_1078
; %bb.1077:                             ;   in Loop: Header=BB2_1017 Depth=2
	s_waitcnt vmcnt(0) lgkmcnt(0)
	buffer_wbinvl1_vol
	s_barrier
.LBB2_1078:                             ;   in Loop: Header=BB2_1017 Depth=2
	s_or_b64 exec, exec, s[76:77]
.LBB2_1079:                             ;   in Loop: Header=BB2_1017 Depth=2
	s_or_b64 exec, exec, s[26:27]
	v_sub_u32_e32 v0, v3, v8
	s_trap 2
	ds_read_b64 v[48:49], v0
	v_min_i32_e32 v54, v54, v0
	s_waitcnt lgkmcnt(0)
	v_cmp_eq_u64_e32 vcc, 0, v[48:49]
	s_cbranch_vccnz .LBB2_1087
; %bb.1080:                             ;   in Loop: Header=BB2_1017 Depth=2
	s_trap 2
	s_waitcnt vmcnt(0)
	ds_read_b64 v[50:51], v0
	s_waitcnt lgkmcnt(0)
	v_cmp_eq_u64_e32 vcc, 0, v[50:51]
	s_cbranch_vccnz .LBB2_1092
; %bb.1081:                             ;   in Loop: Header=BB2_1017 Depth=2
	s_mov_b64 s[26:27], -1
	s_and_saveexec_b64 s[76:77], s[20:21]
	s_cbranch_execz .LBB2_1083
; %bb.1082:                             ;   in Loop: Header=BB2_1017 Depth=2
	ds_read_b32 v0, v0 offset:720
	s_waitcnt lgkmcnt(0)
	v_and_b32_e32 v0, 15, v0
	v_cmp_eq_u32_e32 vcc, 0, v0
	s_orn2_b64 s[26:27], vcc, exec
.LBB2_1083:                             ;   in Loop: Header=BB2_1017 Depth=2
	s_or_b64 exec, exec, s[76:77]
	s_and_saveexec_b64 s[76:77], s[18:19]
	s_cbranch_execz .LBB2_1085
; %bb.1084:                             ;   in Loop: Header=BB2_1017 Depth=2
	ds_read_b32 v0, v0 offset:784
	s_waitcnt lgkmcnt(0)
	v_and_b32_e32 v0, 15, v0
	v_cmp_eq_u32_e32 vcc, 0, v0
	s_and_b64 s[78:79], s[26:27], vcc
	s_andn2_b64 s[26:27], s[26:27], exec
	s_and_b64 s[78:79], s[78:79], exec
	s_or_b64 s[26:27], s[26:27], s[78:79]
.LBB2_1085:                             ;   in Loop: Header=BB2_1017 Depth=2
	s_or_b64 exec, exec, s[76:77]
	v_cmp_eq_u32_e32 vcc, 0, v9
	s_xor_b64 s[26:27], s[26:27], -1
	v_cndmask_b32_e32 v9, 0, v54, vcc
	v_cndmask_b32_e64 v0, 0, 1, s[26:27]
	v_lshlrev_b32_e32 v55, 2, v9
	s_mov_b64 s[78:79], -1
	v_cmp_ne_u32_e32 vcc, 0, v0
	v_mov_b32_e32 v0, 0
	s_cbranch_vccz .LBB2_1093
; %bb.1086:                             ;   in Loop: Header=BB2_1017 Depth=2
	buffer_load_dword v18, off, s[0:3], s33 offset:68 ; 4-byte Folded Reload
	v_mov_b32_e32 v14, v58
	s_and_saveexec_b64 s[26:27], s[78:79]
	s_cbranch_execnz .LBB2_1106
	s_branch .LBB2_1114
.LBB2_1087:                             ;   in Loop: Header=BB2_1017 Depth=2
	s_mov_b64 s[26:27], 0
	s_and_saveexec_b64 s[76:77], s[10:11]
	s_cbranch_execnz .LBB2_1115
.LBB2_1088:                             ;   in Loop: Header=BB2_1017 Depth=2
	s_or_b64 exec, exec, s[76:77]
	s_and_saveexec_b64 s[76:77], s[24:25]
	s_xor_b64 s[76:77], exec, s[76:77]
	s_cbranch_execz .LBB2_1133
.LBB2_1089:                             ;   in Loop: Header=BB2_1017 Depth=2
	v_and_b32_e32 v0, 16, v60
	v_cmp_ne_u32_e32 vcc, 0, v0
	s_and_b64 s[78:79], vcc, s[26:27]
	s_and_saveexec_b64 s[26:27], s[78:79]
	s_cbranch_execz .LBB2_1091
; %bb.1090:                             ;   in Loop: Header=BB2_1017 Depth=2
	s_waitcnt vmcnt(0) lgkmcnt(0)
	buffer_wbinvl1_vol
.LBB2_1091:                             ;   in Loop: Header=BB2_1017 Depth=2
	s_or_b64 exec, exec, s[26:27]
	s_andn2_saveexec_b64 s[26:27], s[76:77]
	s_cbranch_execz .LBB2_1152
	s_branch .LBB2_1134
.LBB2_1092:                             ;   in Loop: Header=BB2_1017 Depth=2
	s_mov_b64 s[26:27], 0
	buffer_load_dword v50, off, s[0:3], s33 offset:100 ; 4-byte Folded Reload
	v_mov_b32_e32 v51, 0xc8
	s_and_saveexec_b64 s[76:77], s[10:11]
	s_cbranch_execz .LBB2_1088
	s_branch .LBB2_1115
.LBB2_1093:                             ;   in Loop: Header=BB2_1017 Depth=2
	buffer_load_dword v14, off, s[0:3], s33 offset:68 ; 4-byte Folded Reload
	v_ashrrev_i32_e32 v0, 31, v55
	v_lshrrev_b32_e32 v0, 21, v0
	v_add_u32_e32 v0, v55, v0
	v_ashrrev_i32_e32 v0, 11, v0
	s_waitcnt vmcnt(0)
	v_sub_u32_e32 v19, v0, v14
	v_cmp_lt_i32_e32 vcc, 0, v19
	s_and_saveexec_b64 s[26:27], vcc
	s_cbranch_execz .LBB2_1097
; %bb.1094:                             ;   in Loop: Header=BB2_1017 Depth=2
	buffer_load_dword v52, off, s[0:3], s33 offset:136 ; 4-byte Folded Reload
	buffer_load_dword v53, off, s[0:3], s33 offset:140 ; 4-byte Folded Reload
	s_mov_b64 s[76:77], 0
.LBB2_1095:                             ;   Parent Loop BB2_47 Depth=1
                                        ;     Parent Loop BB2_1017 Depth=2
                                        ; =>    This Inner Loop Header: Depth=3
	s_waitcnt vmcnt(1)
	v_add_co_u32_e32 v22, vcc, v48, v52
	s_waitcnt vmcnt(0)
	v_addc_co_u32_e32 v23, vcc, v49, v53, vcc
	global_load_dwordx4 v[14:17], v[22:23], off glc slc
	s_nop 0
	global_load_dwordx4 v[22:25], v[22:23], off offset:1024 glc slc
	v_add_co_u32_e32 v34, vcc, v50, v52
	v_addc_co_u32_e32 v35, vcc, v51, v53, vcc
	v_add_co_u32_e32 v52, vcc, v52, v46
	v_sub_u32_e32 v19, v19, v62
	v_addc_co_u32_e32 v53, vcc, 0, v53, vcc
	v_cmp_gt_i32_e32 vcc, 1, v19
	s_or_b64 s[76:77], vcc, s[76:77]
	s_waitcnt vmcnt(1)
	global_store_dwordx4 v[34:35], v[14:17], off glc slc
	s_waitcnt vmcnt(1)
	global_store_dwordx4 v[34:35], v[22:25], off offset:1024 glc slc
	s_andn2_b64 exec, exec, s[76:77]
	s_cbranch_execnz .LBB2_1095
; %bb.1096:                             ;   in Loop: Header=BB2_1017 Depth=2
	s_or_b64 exec, exec, s[76:77]
	buffer_load_dword v34, off, s[0:3], s33 offset:72 ; 4-byte Folded Reload
	buffer_load_dword v35, off, s[0:3], s33 offset:76 ; 4-byte Folded Reload
	buffer_load_dword v36, off, s[0:3], s33 offset:80 ; 4-byte Folded Reload
	buffer_load_dword v37, off, s[0:3], s33 offset:84 ; 4-byte Folded Reload
.LBB2_1097:                             ;   in Loop: Header=BB2_1017 Depth=2
	s_or_b64 exec, exec, s[26:27]
	v_lshlrev_b32_e32 v15, 11, v0
	v_cmp_ne_u32_e32 vcc, v55, v15
	s_mov_b64 s[78:79], 0
	v_mov_b32_e32 v0, 0
                                        ; implicit-def: $vgpr14
                                        ; implicit-def: $vgpr18
	s_and_saveexec_b64 s[76:77], vcc
	s_cbranch_execz .LBB2_1105
; %bb.1098:                             ;   in Loop: Header=BB2_1017 Depth=2
	buffer_load_dword v14, off, s[0:3], s33 offset:104 ; 4-byte Folded Reload
	v_lshlrev_b32_e32 v0, 6, v19
	v_sub_u32_e32 v16, v55, v15
	v_ashrrev_i32_e32 v18, 31, v16
	v_lshrrev_b32_e32 v18, 22, v18
	v_add_u32_e32 v18, v16, v18
	v_and_b32_e32 v30, 0xfffffc00, v18
	s_waitcnt vmcnt(1)
	v_sub_u32_e32 v37, v16, v30
	v_ashrrev_i32_e32 v22, 10, v18
	v_cmp_lt_i32_e32 vcc, 15, v37
	s_waitcnt vmcnt(0)
	v_sub_u32_e32 v0, v14, v0
	v_ashrrev_i32_e32 v14, 31, v0
	v_lshrrev_b32_e32 v14, 26, v14
	v_add_u32_e32 v14, v0, v14
	v_ashrrev_i32_e32 v17, 6, v14
	v_and_b32_e32 v14, 0xffffffc0, v14
	v_sub_u32_e32 v19, v0, v14
	v_lshlrev_b32_e32 v0, 4, v19
	v_lshl_add_u32 v14, v17, 10, v0
	v_sub_u32_e32 v0, v16, v14
	v_addc_co_u32_e64 v16, s[26:27], 0, v22, vcc
	v_sub_u32_e32 v36, v16, v17
	v_cmp_lt_i32_e64 s[26:27], 15, v0
	s_and_saveexec_b64 s[78:79], s[26:27]
	s_cbranch_execz .LBB2_1102
; %bb.1099:                             ;   in Loop: Header=BB2_1017 Depth=2
	v_add_u32_e32 v14, v14, v15
	v_ashrrev_i32_e32 v18, 31, v14
	s_mov_b64 s[88:89], 0
.LBB2_1100:                             ;   Parent Loop BB2_47 Depth=1
                                        ;     Parent Loop BB2_1017 Depth=2
                                        ; =>    This Inner Loop Header: Depth=3
	v_add_co_u32_e64 v16, s[26:27], v48, v14
	v_addc_co_u32_e64 v17, s[26:27], v49, v18, s[26:27]
	global_load_dwordx4 v[22:25], v[16:17], off glc slc
	v_add_co_u32_e64 v16, s[26:27], v50, v14
	v_addc_co_u32_e64 v17, s[26:27], v51, v18, s[26:27]
	v_add_co_u32_e64 v14, s[26:27], v14, v32
	v_sub_u32_e32 v0, v0, v32
	v_addc_co_u32_e64 v18, s[26:27], 0, v18, s[26:27]
	v_cmp_gt_i32_e64 s[26:27], 16, v0
	v_sub_u32_e32 v36, v36, v62
	s_or_b64 s[88:89], s[26:27], s[88:89]
	s_waitcnt vmcnt(0)
	global_store_dwordx4 v[16:17], v[22:25], off glc slc
	s_andn2_b64 exec, exec, s[88:89]
	s_cbranch_execnz .LBB2_1100
; %bb.1101:                             ;   in Loop: Header=BB2_1017 Depth=2
	s_or_b64 exec, exec, s[88:89]
.LBB2_1102:                             ;   in Loop: Header=BB2_1017 Depth=2
	s_or_b64 exec, exec, s[78:79]
	v_and_b32_e32 v52, 12, v55
	v_cndmask_b32_e32 v55, v37, v52, vcc
	v_mov_b32_e32 v0, 0
	v_cmp_ne_u32_e64 s[26:27], 0, v55
	s_mov_b64 s[88:89], 0
                                        ; implicit-def: $vgpr14
                                        ; implicit-def: $vgpr18
	s_and_saveexec_b64 s[78:79], s[26:27]
	s_cbranch_execz .LBB2_1104
; %bb.1103:                             ;   in Loop: Header=BB2_1017 Depth=2
	v_sub_u32_e32 v0, v37, v52
	v_cndmask_b32_e32 v0, 0, v0, vcc
	v_cmp_lt_i32_e32 vcc, 0, v36
	v_cndmask_b32_e32 v14, 0, v62, vcc
	v_sub_u32_e32 v14, v14, v36
	v_lshl_add_u32 v14, v14, 6, v19
	v_add3_u32 v0, v30, v15, v0
	v_ashrrev_i32_e32 v15, 31, v14
	v_lshrrev_b32_e32 v15, 26, v15
	v_add_u32_e32 v15, v14, v15
	v_ashrrev_i32_e32 v18, 6, v15
	s_mov_b64 s[88:89], exec
.LBB2_1104:                             ;   in Loop: Header=BB2_1017 Depth=2
	s_or_b64 exec, exec, s[78:79]
	buffer_load_dword v34, off, s[0:3], s33 offset:72 ; 4-byte Folded Reload
	buffer_load_dword v35, off, s[0:3], s33 offset:76 ; 4-byte Folded Reload
	buffer_load_dword v36, off, s[0:3], s33 offset:80 ; 4-byte Folded Reload
	buffer_load_dword v37, off, s[0:3], s33 offset:84 ; 4-byte Folded Reload
	s_and_b64 s[78:79], s[88:89], exec
	v_mov_b32_e32 v30, 0x90
.LBB2_1105:                             ;   in Loop: Header=BB2_1017 Depth=2
	s_or_b64 exec, exec, s[76:77]
	s_and_saveexec_b64 s[26:27], s[78:79]
	s_cbranch_execz .LBB2_1114
.LBB2_1106:                             ;   in Loop: Header=BB2_1017 Depth=2
	v_ashrrev_i32_e32 v15, 31, v55
	v_lshrrev_b32_e32 v15, 23, v15
	v_add_u32_e32 v15, v55, v15
	v_ashrrev_i32_e32 v30, 9, v15
	s_waitcnt vmcnt(0)
	v_sub_u32_e32 v15, v30, v18
	v_ashrrev_i32_e32 v16, 31, v14
	v_cmp_lt_i32_e32 vcc, 0, v15
	v_lshrrev_b32_e32 v19, 26, v16
	s_and_saveexec_b64 s[76:77], vcc
	s_cbranch_execz .LBB2_1110
; %bb.1107:                             ;   in Loop: Header=BB2_1017 Depth=2
	v_add_u32_e32 v16, v14, v19
	v_and_b32_e32 v16, 0x3fffffc0, v16
	v_sub_u32_e32 v16, v14, v16
	v_lshlrev_b32_e32 v16, 2, v16
	v_lshlrev_b32_e32 v17, 9, v18
	v_add3_u32 v18, v16, v0, v17
	v_ashrrev_i32_e32 v36, 31, v18
	s_mov_b64 s[78:79], 0
.LBB2_1108:                             ;   Parent Loop BB2_47 Depth=1
                                        ;     Parent Loop BB2_1017 Depth=2
                                        ; =>    This Inner Loop Header: Depth=3
	v_add_co_u32_e32 v16, vcc, v48, v18
	v_addc_co_u32_e32 v17, vcc, v49, v36, vcc
	flat_load_dword v22, v[16:17] glc slc
	flat_load_dword v23, v[16:17] offset:256 glc slc
	v_add_co_u32_e32 v16, vcc, v50, v18
	v_addc_co_u32_e32 v17, vcc, v51, v36, vcc
	v_add_co_u32_e32 v18, vcc, v18, v33
	v_sub_u32_e32 v15, v15, v62
	v_addc_co_u32_e32 v36, vcc, 0, v36, vcc
	v_cmp_gt_i32_e32 vcc, 1, v15
	s_or_b64 s[78:79], vcc, s[78:79]
	s_waitcnt vmcnt(0) lgkmcnt(0)
	flat_store_dword v[16:17], v22 glc slc
	flat_store_dword v[16:17], v23 offset:256 glc slc
	s_andn2_b64 exec, exec, s[78:79]
	s_cbranch_execnz .LBB2_1108
; %bb.1109:                             ;   in Loop: Header=BB2_1017 Depth=2
	s_or_b64 exec, exec, s[78:79]
	buffer_load_dword v34, off, s[0:3], s33 offset:72 ; 4-byte Folded Reload
	buffer_load_dword v35, off, s[0:3], s33 offset:76 ; 4-byte Folded Reload
	;; [unrolled: 1-line block ×4, first 2 shown]
.LBB2_1110:                             ;   in Loop: Header=BB2_1017 Depth=2
	s_or_b64 exec, exec, s[76:77]
	v_lshlrev_b32_e32 v18, 9, v30
	v_cmp_ne_u32_e32 vcc, v55, v18
	s_and_b64 s[76:77], exec, vcc
	v_mov_b32_e32 v30, 0x90
	s_mov_b64 exec, s[76:77]
	s_cbranch_execz .LBB2_1114
; %bb.1111:                             ;   in Loop: Header=BB2_1017 Depth=2
	v_add_u32_e32 v16, v14, v19
	v_and_b32_e32 v16, 0xffffffc0, v16
	v_sub_u32_e32 v14, v14, v16
	v_lshlrev_b32_e32 v15, 6, v15
	v_sub_u32_e32 v14, v14, v15
	v_ashrrev_i32_e32 v15, 31, v14
	v_lshrrev_b32_e32 v15, 26, v15
	v_add_u32_e32 v15, v14, v15
	v_and_b32_e32 v16, 0x3fffffc0, v15
	v_sub_u32_e32 v14, v14, v16
	v_lshlrev_b32_e32 v15, 2, v15
	v_and_b32_e32 v15, 0xffffff00, v15
	v_lshlrev_b32_e32 v14, 2, v14
	v_add3_u32 v15, v15, v14, v18
	v_sub_u32_e32 v14, v55, v15
	v_cmp_lt_i32_e32 vcc, 3, v14
	s_and_b64 exec, exec, vcc
	s_cbranch_execz .LBB2_1114
; %bb.1112:                             ;   in Loop: Header=BB2_1017 Depth=2
	v_add_u32_e32 v0, v15, v0
	v_ashrrev_i32_e32 v15, 31, v0
	s_mov_b64 s[76:77], 0
.LBB2_1113:                             ;   Parent Loop BB2_47 Depth=1
                                        ;     Parent Loop BB2_1017 Depth=2
                                        ; =>    This Inner Loop Header: Depth=3
	v_add_co_u32_e32 v16, vcc, v48, v0
	v_addc_co_u32_e32 v17, vcc, v49, v15, vcc
	flat_load_dword v18, v[16:17] glc slc
	v_add_co_u32_e32 v16, vcc, v50, v0
	v_addc_co_u32_e32 v17, vcc, v51, v15, vcc
	v_add_co_u32_e32 v0, vcc, v0, v4
	v_sub_u32_e32 v14, v14, v4
	v_addc_co_u32_e32 v15, vcc, 0, v15, vcc
	v_cmp_gt_i32_e32 vcc, 4, v14
	s_or_b64 s[76:77], vcc, s[76:77]
	s_waitcnt vmcnt(0) lgkmcnt(0)
	flat_store_dword v[16:17], v18 glc slc
	s_andn2_b64 exec, exec, s[76:77]
	s_cbranch_execnz .LBB2_1113
.LBB2_1114:                             ;   in Loop: Header=BB2_1017 Depth=2
	s_or_b64 exec, exec, s[26:27]
	v_cmp_lt_i32_e64 s[26:27], 0, v9
	buffer_load_dword v50, off, s[0:3], s33 offset:100 ; 4-byte Folded Reload
	v_mov_b32_e32 v51, 0xc8
	s_and_saveexec_b64 s[76:77], s[10:11]
	s_cbranch_execz .LBB2_1088
.LBB2_1115:                             ;   in Loop: Header=BB2_1017 Depth=2
	s_and_saveexec_b64 s[78:79], s[56:57]
	s_xor_b64 s[78:79], exec, s[78:79]
	s_cbranch_execz .LBB2_1130
; %bb.1116:                             ;   in Loop: Header=BB2_1017 Depth=2
	s_and_saveexec_b64 s[88:89], s[16:17]
	s_cbranch_execz .LBB2_1129
; %bb.1117:                             ;   in Loop: Header=BB2_1017 Depth=2
	s_mov_b64 s[92:93], exec
	v_mbcnt_lo_u32_b32 v0, s92, 0
	v_mbcnt_hi_u32_b32 v0, s93, v0
	v_cmp_eq_u32_e32 vcc, 0, v0
	s_waitcnt vmcnt(0) lgkmcnt(0)
	buffer_wbinvl1_vol
	s_and_saveexec_b64 s[90:91], vcc
	s_cbranch_execz .LBB2_1119
; %bb.1118:                             ;   in Loop: Header=BB2_1017 Depth=2
	s_bcnt1_i32_b64 s92, s[92:93]
	v_mov_b32_e32 v14, s92
	v_mov_b32_e32 v15, v2
	ds_add_u64 v0, v[14:15]
	s_trap 2
.LBB2_1119:                             ;   in Loop: Header=BB2_1017 Depth=2
	s_or_b64 exec, exec, s[90:91]
	s_trap 2
	ds_read_b64 v[14:15], v0
	s_waitcnt lgkmcnt(0)
	v_add_co_u32_e32 v12, vcc, v12, v62
	v_addc_co_u32_e32 v13, vcc, 0, v13, vcc
	v_cmp_lt_u64_e32 vcc, v[14:15], v[12:13]
	s_and_saveexec_b64 s[90:91], vcc
	s_cbranch_execz .LBB2_1128
; %bb.1120:                             ;   in Loop: Header=BB2_1017 Depth=2
	s_mov_b32 s38, 0
	s_mov_b64 s[92:93], 0
                                        ; implicit-def: $sgpr94_sgpr95
                                        ; implicit-def: $sgpr30_sgpr31
	s_branch .LBB2_1122
.LBB2_1121:                             ;   in Loop: Header=BB2_1122 Depth=3
	s_or_b64 exec, exec, s[36:37]
	s_and_b64 vcc, exec, vcc
	s_or_b64 s[92:93], vcc, s[92:93]
	s_andn2_b64 s[94:95], s[94:95], exec
	s_and_b64 vcc, s[30:31], exec
	s_or_b64 s[94:95], s[94:95], vcc
	s_andn2_b64 exec, exec, s[92:93]
	s_cbranch_execz .LBB2_1126
.LBB2_1122:                             ;   Parent Loop BB2_47 Depth=1
                                        ;     Parent Loop BB2_1017 Depth=2
                                        ; =>    This Inner Loop Header: Depth=3
	s_add_i32 s38, s38, 1
	s_cmpk_lg_i32 s38, 0x2710
	s_cselect_b64 s[34:35], -1, 0
	s_and_b64 vcc, exec, s[34:35]
	s_cbranch_vccz .LBB2_1124
; %bb.1123:                             ;   in Loop: Header=BB2_1122 Depth=3
	s_mov_b64 vcc, -1
	s_or_b64 s[30:31], s[30:31], exec
	s_and_saveexec_b64 s[36:37], s[34:35]
	s_cbranch_execz .LBB2_1121
	s_branch .LBB2_1125
.LBB2_1124:                             ;   in Loop: Header=BB2_1122 Depth=3
	s_trap 2
	ds_read_b64 v[14:15], v0
	s_andn2_b64 s[34:35], s[34:35], exec
	s_mov_b32 s38, 0
	s_waitcnt lgkmcnt(0)
	flat_load_dword v0, v[14:15] glc
	s_waitcnt vmcnt(0) lgkmcnt(0)
	buffer_wbinvl1_vol
	v_cmp_eq_u32_e32 vcc, 0, v0
	s_and_b64 vcc, vcc, exec
	s_or_b64 s[34:35], s[34:35], vcc
	s_mov_b64 vcc, -1
	s_or_b64 s[30:31], s[30:31], exec
	s_and_saveexec_b64 s[36:37], s[34:35]
	s_cbranch_execz .LBB2_1121
.LBB2_1125:                             ;   in Loop: Header=BB2_1122 Depth=3
	s_sleep 1
	s_trap 2
	ds_read_b64 v[14:15], v0
	s_waitcnt lgkmcnt(0)
	s_andn2_b64 s[30:31], s[30:31], exec
	v_cmp_ge_u64_e32 vcc, v[14:15], v[12:13]
	s_orn2_b64 vcc, vcc, exec
	s_branch .LBB2_1121
.LBB2_1126:                             ;   in Loop: Header=BB2_1017 Depth=2
	s_or_b64 exec, exec, s[92:93]
	s_and_saveexec_b64 s[92:93], s[94:95]
	s_xor_b64 s[92:93], exec, s[92:93]
	s_cbranch_execz .LBB2_1128
; %bb.1127:                             ;   in Loop: Header=BB2_1017 Depth=2
	ds_write_b32 v0, v28
	s_trap 2
.LBB2_1128:                             ;   in Loop: Header=BB2_1017 Depth=2
	s_or_b64 exec, exec, s[90:91]
	;;#ASMSTART
	s_wakeup
	;;#ASMEND
.LBB2_1129:                             ;   in Loop: Header=BB2_1017 Depth=2
	s_or_b64 exec, exec, s[88:89]
.LBB2_1130:                             ;   in Loop: Header=BB2_1017 Depth=2
	s_andn2_saveexec_b64 s[78:79], s[78:79]
	s_cbranch_execz .LBB2_1132
; %bb.1131:                             ;   in Loop: Header=BB2_1017 Depth=2
	s_waitcnt vmcnt(0) lgkmcnt(0)
	buffer_wbinvl1_vol
	s_barrier
.LBB2_1132:                             ;   in Loop: Header=BB2_1017 Depth=2
	s_or_b64 exec, exec, s[78:79]
	s_or_b64 exec, exec, s[76:77]
	s_and_saveexec_b64 s[76:77], s[24:25]
	s_xor_b64 s[76:77], exec, s[76:77]
	s_cbranch_execnz .LBB2_1089
.LBB2_1133:                             ;   in Loop: Header=BB2_1017 Depth=2
	s_andn2_saveexec_b64 s[26:27], s[76:77]
	s_cbranch_execz .LBB2_1152
.LBB2_1134:                             ;   in Loop: Header=BB2_1017 Depth=2
	s_and_saveexec_b64 s[76:77], s[56:57]
	s_xor_b64 s[76:77], exec, s[76:77]
	s_cbranch_execz .LBB2_1149
; %bb.1135:                             ;   in Loop: Header=BB2_1017 Depth=2
	s_and_saveexec_b64 s[78:79], s[16:17]
	s_cbranch_execz .LBB2_1148
; %bb.1136:                             ;   in Loop: Header=BB2_1017 Depth=2
	s_mov_b64 s[90:91], exec
	v_mbcnt_lo_u32_b32 v0, s90, 0
	v_mbcnt_hi_u32_b32 v0, s91, v0
	v_cmp_eq_u32_e32 vcc, 0, v0
	;;#ASMSTART
	s_waitcnt lgkmcnt(0) vmcnt(0)
	;;#ASMEND
	s_and_saveexec_b64 s[88:89], vcc
	s_cbranch_execz .LBB2_1138
; %bb.1137:                             ;   in Loop: Header=BB2_1017 Depth=2
	s_bcnt1_i32_b64 s90, s[90:91]
	v_mov_b32_e32 v14, s90
	v_mov_b32_e32 v15, v2
	s_waitcnt lgkmcnt(0)
	ds_add_u64 v0, v[14:15]
	s_trap 2
.LBB2_1138:                             ;   in Loop: Header=BB2_1017 Depth=2
	s_or_b64 exec, exec, s[88:89]
	s_trap 2
	ds_read_b64 v[14:15], v0
	s_waitcnt lgkmcnt(0)
	v_add_co_u32_e32 v12, vcc, v12, v62
	v_addc_co_u32_e32 v13, vcc, 0, v13, vcc
	v_cmp_lt_u64_e32 vcc, v[14:15], v[12:13]
	s_and_saveexec_b64 s[88:89], vcc
	s_cbranch_execz .LBB2_1147
; %bb.1139:                             ;   in Loop: Header=BB2_1017 Depth=2
	s_mov_b32 s36, 0
	s_mov_b64 s[90:91], 0
                                        ; implicit-def: $sgpr92_sgpr93
                                        ; implicit-def: $sgpr94_sgpr95
	s_branch .LBB2_1141
.LBB2_1140:                             ;   in Loop: Header=BB2_1141 Depth=3
	s_or_b64 exec, exec, s[34:35]
	s_and_b64 vcc, exec, vcc
	s_or_b64 s[90:91], vcc, s[90:91]
	s_andn2_b64 s[92:93], s[92:93], exec
	s_and_b64 vcc, s[94:95], exec
	s_or_b64 s[92:93], s[92:93], vcc
	s_andn2_b64 exec, exec, s[90:91]
	s_cbranch_execz .LBB2_1145
.LBB2_1141:                             ;   Parent Loop BB2_47 Depth=1
                                        ;     Parent Loop BB2_1017 Depth=2
                                        ; =>    This Inner Loop Header: Depth=3
	s_add_i32 s36, s36, 1
	s_cmpk_lg_i32 s36, 0x2710
	s_cselect_b64 s[30:31], -1, 0
	s_and_b64 vcc, exec, s[30:31]
	s_cbranch_vccz .LBB2_1143
; %bb.1142:                             ;   in Loop: Header=BB2_1141 Depth=3
	s_mov_b64 vcc, -1
	s_or_b64 s[94:95], s[94:95], exec
	s_and_saveexec_b64 s[34:35], s[30:31]
	s_cbranch_execz .LBB2_1140
	s_branch .LBB2_1144
.LBB2_1143:                             ;   in Loop: Header=BB2_1141 Depth=3
	s_trap 2
	ds_read_b64 v[14:15], v0
	s_andn2_b64 s[30:31], s[30:31], exec
	s_mov_b32 s36, 0
	s_waitcnt vmcnt(0) lgkmcnt(0)
	flat_load_dword v0, v[14:15] glc
	s_waitcnt vmcnt(0) lgkmcnt(0)
	buffer_wbinvl1_vol
	v_cmp_eq_u32_e32 vcc, 0, v0
	s_and_b64 vcc, vcc, exec
	s_or_b64 s[30:31], s[30:31], vcc
	s_mov_b64 vcc, -1
	s_or_b64 s[94:95], s[94:95], exec
	s_and_saveexec_b64 s[34:35], s[30:31]
	s_cbranch_execz .LBB2_1140
.LBB2_1144:                             ;   in Loop: Header=BB2_1141 Depth=3
	s_sleep 1
	s_trap 2
	ds_read_b64 v[14:15], v0
	s_waitcnt lgkmcnt(0)
	s_andn2_b64 s[94:95], s[94:95], exec
	v_cmp_ge_u64_e32 vcc, v[14:15], v[12:13]
	s_orn2_b64 vcc, vcc, exec
	s_branch .LBB2_1140
.LBB2_1145:                             ;   in Loop: Header=BB2_1017 Depth=2
	s_or_b64 exec, exec, s[90:91]
	s_and_saveexec_b64 s[90:91], s[92:93]
	s_xor_b64 s[90:91], exec, s[90:91]
	s_cbranch_execz .LBB2_1147
; %bb.1146:                             ;   in Loop: Header=BB2_1017 Depth=2
	ds_write_b32 v0, v28
	s_trap 2
.LBB2_1147:                             ;   in Loop: Header=BB2_1017 Depth=2
	s_or_b64 exec, exec, s[88:89]
	;;#ASMSTART
	s_wakeup
	;;#ASMEND
.LBB2_1148:                             ;   in Loop: Header=BB2_1017 Depth=2
	s_or_b64 exec, exec, s[78:79]
.LBB2_1149:                             ;   in Loop: Header=BB2_1017 Depth=2
	s_andn2_saveexec_b64 s[76:77], s[76:77]
	s_cbranch_execz .LBB2_1151
; %bb.1150:                             ;   in Loop: Header=BB2_1017 Depth=2
	;;#ASMSTART
	s_waitcnt lgkmcnt(0) vmcnt(0)
	;;#ASMEND
	s_waitcnt vmcnt(0) lgkmcnt(0)
	s_barrier
.LBB2_1151:                             ;   in Loop: Header=BB2_1017 Depth=2
	s_or_b64 exec, exec, s[76:77]
.LBB2_1152:                             ;   in Loop: Header=BB2_1017 Depth=2
	s_or_b64 exec, exec, s[26:27]
	v_and_b32_e32 v0, 32, v60
	v_cmp_ne_u32_e32 vcc, 0, v0
	s_and_saveexec_b64 s[26:27], vcc
	s_cbranch_execz .LBB2_1016
; %bb.1153:                             ;   in Loop: Header=BB2_1017 Depth=2
	v_add_co_u32_e32 v38, vcc, 2, v38
	v_addc_co_u32_e32 v39, vcc, 0, v39, vcc
	flat_store_dwordx2 v[20:21], v[38:39]
	s_branch .LBB2_1016
.LBB2_1154:                             ;   in Loop: Header=BB2_47 Depth=1
	s_or_b64 exec, exec, s[40:41]
.LBB2_1155:                             ;   in Loop: Header=BB2_47 Depth=1
	s_or_b64 exec, exec, s[28:29]
	v_cmp_gt_i32_e32 vcc, 2, v0
	s_and_saveexec_b64 s[28:29], vcc
	s_cbranch_execz .LBB2_46
; %bb.1156:                             ;   in Loop: Header=BB2_47 Depth=1
	v_cmp_eq_u32_e64 s[42:43], 0, v0
	s_mov_b64 s[40:41], 0
	s_branch .LBB2_1158
.LBB2_1157:                             ;   in Loop: Header=BB2_1158 Depth=2
	s_or_b64 exec, exec, s[26:27]
	v_add_u32_e32 v8, v54, v8
	s_mov_b64 s[42:43], 0
	s_andn2_b64 exec, exec, s[40:41]
	s_cbranch_execz .LBB2_45
.LBB2_1158:                             ;   Parent Loop BB2_47 Depth=1
                                        ; =>  This Loop Header: Depth=2
                                        ;       Child Loop BB2_1164 Depth 3
                                        ;       Child Loop BB2_1188 Depth 3
	;; [unrolled: 1-line block ×3, first 2 shown]
	v_and_b32_e32 v0, 4, v60
	v_cmp_ne_u32_e32 vcc, 0, v0
	s_and_saveexec_b64 s[76:77], vcc
	s_cbranch_execz .LBB2_1180
; %bb.1159:                             ;   in Loop: Header=BB2_1158 Depth=2
	v_add_co_u32_e32 v9, vcc, 2, v38
	v_addc_co_u32_e32 v10, vcc, 0, v39, vcc
	s_waitcnt vmcnt(0) lgkmcnt(0)
	v_cmp_lt_u64_e32 vcc, v[26:27], v[9:10]
	s_and_saveexec_b64 s[78:79], vcc
	s_cbranch_execz .LBB2_1171
; %bb.1160:                             ;   in Loop: Header=BB2_1158 Depth=2
	v_and_b32_e32 v0, 64, v60
	s_mov_b32 s75, 0
	v_cmp_eq_u32_e32 vcc, 0, v0
	s_mov_b64 s[88:89], 0
                                        ; implicit-def: $sgpr90_sgpr91
                                        ; implicit-def: $sgpr92_sgpr93
                                        ; implicit-def: $sgpr94_sgpr95
	s_branch .LBB2_1164
.LBB2_1161:                             ;   in Loop: Header=BB2_1164 Depth=3
	s_waitcnt vmcnt(0) lgkmcnt(0)
	v_cmp_ge_u64_e64 s[26:27], v[26:27], v[9:10]
	s_or_b64 s[36:37], s[36:37], exec
	s_orn2_b64 s[34:35], s[26:27], exec
.LBB2_1162:                             ;   in Loop: Header=BB2_1164 Depth=3
	s_or_b64 exec, exec, s[48:49]
	s_andn2_b64 s[26:27], s[94:95], exec
	s_and_b64 s[94:95], s[36:37], exec
	s_or_b64 s[94:95], s[26:27], s[94:95]
	s_andn2_b64 s[26:27], s[92:93], exec
	s_and_b64 s[92:93], s[34:35], exec
	s_or_b64 s[92:93], s[26:27], s[92:93]
.LBB2_1163:                             ;   in Loop: Header=BB2_1164 Depth=3
	s_or_b64 exec, exec, s[30:31]
	s_and_b64 s[26:27], exec, s[92:93]
	s_or_b64 s[88:89], s[26:27], s[88:89]
	s_andn2_b64 s[26:27], s[90:91], exec
	s_and_b64 s[90:91], s[94:95], exec
	s_or_b64 s[90:91], s[26:27], s[90:91]
	s_andn2_b64 exec, exec, s[88:89]
	s_cbranch_execz .LBB2_1168
.LBB2_1164:                             ;   Parent Loop BB2_47 Depth=1
                                        ;     Parent Loop BB2_1158 Depth=2
                                        ; =>    This Inner Loop Header: Depth=3
	s_sleep 1
	s_waitcnt vmcnt(0) lgkmcnt(0)
	flat_load_dwordx2 v[26:27], v[20:21] glc
	s_or_b64 s[94:95], s[94:95], exec
	s_or_b64 s[92:93], s[92:93], exec
                                        ; implicit-def: $vgpr0
	s_and_saveexec_b64 s[30:31], vcc
	s_cbranch_execz .LBB2_1163
; %bb.1165:                             ;   in Loop: Header=BB2_1164 Depth=3
	s_cmpk_lt_i32 s75, 0x270f
	s_cselect_b64 s[38:39], -1, 0
	s_cmpk_gt_i32 s75, 0x270e
	s_mov_b64 s[34:35], -1
	s_cbranch_scc0 .LBB2_1167
; %bb.1166:                             ;   in Loop: Header=BB2_1164 Depth=3
	s_trap 2
	ds_read_b64 v[14:15], v0
	s_andn2_b64 s[38:39], s[38:39], exec
	s_mov_b32 s75, 0
	s_mov_b64 s[36:37], 0
	s_waitcnt vmcnt(0) lgkmcnt(0)
	flat_load_dword v0, v[14:15] glc
	s_waitcnt vmcnt(0) lgkmcnt(0)
	buffer_wbinvl1_vol
	v_cmp_eq_u32_e64 s[26:27], 0, v0
	s_and_b64 s[26:27], s[26:27], exec
	s_or_b64 s[38:39], s[38:39], s[26:27]
	s_and_saveexec_b64 s[48:49], s[38:39]
	s_cbranch_execz .LBB2_1162
	s_branch .LBB2_1161
.LBB2_1167:                             ;   in Loop: Header=BB2_1164 Depth=3
	s_add_i32 s75, s75, 1
	s_mov_b64 s[36:37], -1
                                        ; implicit-def: $vgpr0
	s_and_saveexec_b64 s[48:49], s[38:39]
	s_cbranch_execz .LBB2_1162
	s_branch .LBB2_1161
.LBB2_1168:                             ;   in Loop: Header=BB2_1158 Depth=2
	s_or_b64 exec, exec, s[88:89]
	s_xor_b64 s[26:27], s[90:91], -1
	s_and_saveexec_b64 s[88:89], s[26:27]
	s_xor_b64 s[26:27], exec, s[88:89]
	s_cbranch_execz .LBB2_1170
; %bb.1169:                             ;   in Loop: Header=BB2_1158 Depth=2
	v_or_b32_e32 v60, 64, v60
	s_waitcnt lgkmcnt(0)
	ds_write_b32 v0, v0
	s_trap 2
.LBB2_1170:                             ;   in Loop: Header=BB2_1158 Depth=2
	s_or_b64 exec, exec, s[26:27]
.LBB2_1171:                             ;   in Loop: Header=BB2_1158 Depth=2
	s_or_b64 exec, exec, s[78:79]
	v_and_b32_e32 v0, 0x100, v60
	v_cmp_ne_u32_e32 vcc, 0, v0
	v_and_b32_e32 v0, 7, v38
	s_mov_b64 s[26:27], -1
	;;#ASMSTART
	s_wakeup
	;;#ASMEND
                                        ; implicit-def: $vgpr38_vgpr39
	s_and_saveexec_b64 s[78:79], vcc
	s_cbranch_execz .LBB2_1175
; %bb.1172:                             ;   in Loop: Header=BB2_1158 Depth=2
	v_mad_u64_u32 v[48:49], s[26:27], v0, 24, v[34:35]
                                        ; implicit-def: $vgpr38_vgpr39
	flat_load_dword v11, v[48:49]
	s_waitcnt vmcnt(0) lgkmcnt(0)
	v_cmp_ne_u32_e32 vcc, 1, v11
	v_cmp_eq_u32_e64 s[26:27], 1, v11
	s_and_saveexec_b64 s[88:89], s[26:27]
	s_cbranch_execz .LBB2_1174
; %bb.1173:                             ;   in Loop: Header=BB2_1158 Depth=2
	flat_load_dword v14, v[48:49] offset:4 glc
	s_waitcnt vmcnt(0) lgkmcnt(0)
	v_ashrrev_i32_e32 v15, 31, v14
	v_lshrrev_b64 v[38:39], 2, v[14:15]
.LBB2_1174:                             ;   in Loop: Header=BB2_1158 Depth=2
	s_or_b64 exec, exec, s[88:89]
	s_orn2_b64 s[26:27], vcc, exec
.LBB2_1175:                             ;   in Loop: Header=BB2_1158 Depth=2
	s_or_b64 exec, exec, s[78:79]
	s_and_saveexec_b64 s[78:79], s[26:27]
; %bb.1176:                             ;   in Loop: Header=BB2_1158 Depth=2
	v_mad_i64_i32 v[38:39], s[26:27], v0, v61, 0
; %bb.1177:                             ;   in Loop: Header=BB2_1158 Depth=2
	s_or_b64 exec, exec, s[78:79]
	v_lshlrev_b64 v[14:15], 2, v[38:39]
	v_add_co_u32_e32 v14, vcc, v6, v14
	v_addc_co_u32_e32 v15, vcc, v7, v15, vcc
	ds_write_b64 v0, v[14:15] offset:720
	v_and_b32_e32 v0, 0x2000, v60
	v_cmp_ne_u32_e32 vcc, 0, v0
	s_and_saveexec_b64 s[26:27], vcc
	s_cbranch_execz .LBB2_1179
; %bb.1178:                             ;   in Loop: Header=BB2_1158 Depth=2
	ds_read_b64 v[14:15], v0 offset:872
	s_waitcnt lgkmcnt(0)
	v_add_co_u32_e32 v14, vcc, 1, v14
	v_addc_co_u32_e32 v15, vcc, 0, v15, vcc
	ds_write_b64 v0, v[14:15] offset:872
.LBB2_1179:                             ;   in Loop: Header=BB2_1158 Depth=2
	s_or_b64 exec, exec, s[26:27]
	v_mov_b32_e32 v39, v10
	v_mov_b32_e32 v38, v9
.LBB2_1180:                             ;   in Loop: Header=BB2_1158 Depth=2
	s_or_b64 exec, exec, s[76:77]
	s_xor_b64 s[26:27], s[42:43], -1
	s_and_b64 s[26:27], exec, s[26:27]
	s_or_b64 s[40:41], s[26:27], s[40:41]
	s_and_saveexec_b64 s[26:27], s[10:11]
	s_cbranch_execz .LBB2_1199
; %bb.1181:                             ;   in Loop: Header=BB2_1158 Depth=2
	s_and_saveexec_b64 s[42:43], s[56:57]
	s_xor_b64 s[42:43], exec, s[42:43]
	s_cbranch_execz .LBB2_1196
; %bb.1182:                             ;   in Loop: Header=BB2_1158 Depth=2
	s_and_saveexec_b64 s[76:77], s[16:17]
	s_cbranch_execz .LBB2_1195
; %bb.1183:                             ;   in Loop: Header=BB2_1158 Depth=2
	s_mov_b64 s[88:89], exec
	v_mbcnt_lo_u32_b32 v0, s88, 0
	v_mbcnt_hi_u32_b32 v0, s89, v0
	v_cmp_eq_u32_e32 vcc, 0, v0
	s_waitcnt vmcnt(0) lgkmcnt(0)
	buffer_wbinvl1_vol
	s_and_saveexec_b64 s[78:79], vcc
	s_cbranch_execz .LBB2_1185
; %bb.1184:                             ;   in Loop: Header=BB2_1158 Depth=2
	s_bcnt1_i32_b64 s75, s[88:89]
	v_mov_b32_e32 v9, s75
	v_mov_b32_e32 v10, v2
	ds_add_u64 v0, v[9:10]
	s_trap 2
.LBB2_1185:                             ;   in Loop: Header=BB2_1158 Depth=2
	s_or_b64 exec, exec, s[78:79]
	s_trap 2
	ds_read_b64 v[9:10], v0
	s_waitcnt lgkmcnt(0)
	v_add_co_u32_e32 v12, vcc, v12, v62
	v_addc_co_u32_e32 v13, vcc, 0, v13, vcc
	v_cmp_lt_u64_e32 vcc, v[9:10], v[12:13]
	s_and_saveexec_b64 s[78:79], vcc
	s_cbranch_execz .LBB2_1194
; %bb.1186:                             ;   in Loop: Header=BB2_1158 Depth=2
	s_mov_b32 s75, 0
	s_mov_b64 s[88:89], 0
                                        ; implicit-def: $sgpr90_sgpr91
                                        ; implicit-def: $sgpr92_sgpr93
	s_branch .LBB2_1188
.LBB2_1187:                             ;   in Loop: Header=BB2_1188 Depth=3
	s_or_b64 exec, exec, s[30:31]
	s_and_b64 s[94:95], exec, vcc
	s_or_b64 s[88:89], s[94:95], s[88:89]
	s_andn2_b64 s[90:91], s[90:91], exec
	s_and_b64 s[94:95], s[92:93], exec
	s_or_b64 s[90:91], s[90:91], s[94:95]
	s_andn2_b64 exec, exec, s[88:89]
	s_cbranch_execz .LBB2_1192
.LBB2_1188:                             ;   Parent Loop BB2_47 Depth=1
                                        ;     Parent Loop BB2_1158 Depth=2
                                        ; =>    This Inner Loop Header: Depth=3
	s_add_i32 s75, s75, 1
	s_cmpk_lg_i32 s75, 0x2710
	s_cselect_b64 s[94:95], -1, 0
	s_and_b64 vcc, exec, s[94:95]
	s_cbranch_vccz .LBB2_1190
; %bb.1189:                             ;   in Loop: Header=BB2_1188 Depth=3
	s_mov_b64 vcc, -1
	s_or_b64 s[92:93], s[92:93], exec
	s_and_saveexec_b64 s[30:31], s[94:95]
	s_cbranch_execz .LBB2_1187
	s_branch .LBB2_1191
.LBB2_1190:                             ;   in Loop: Header=BB2_1188 Depth=3
	s_trap 2
	ds_read_b64 v[9:10], v0
	s_andn2_b64 s[94:95], s[94:95], exec
	s_mov_b32 s75, 0
	s_waitcnt lgkmcnt(0)
	flat_load_dword v0, v[9:10] glc
	s_waitcnt vmcnt(0) lgkmcnt(0)
	buffer_wbinvl1_vol
	v_cmp_eq_u32_e32 vcc, 0, v0
	s_and_b64 vcc, vcc, exec
	s_or_b64 s[94:95], s[94:95], vcc
	s_mov_b64 vcc, -1
	s_or_b64 s[92:93], s[92:93], exec
	s_and_saveexec_b64 s[30:31], s[94:95]
	s_cbranch_execz .LBB2_1187
.LBB2_1191:                             ;   in Loop: Header=BB2_1188 Depth=3
	s_sleep 1
	s_trap 2
	ds_read_b64 v[9:10], v0
	s_waitcnt lgkmcnt(0)
	s_andn2_b64 s[92:93], s[92:93], exec
	v_cmp_ge_u64_e32 vcc, v[9:10], v[12:13]
	s_orn2_b64 vcc, vcc, exec
	s_branch .LBB2_1187
.LBB2_1192:                             ;   in Loop: Header=BB2_1158 Depth=2
	s_or_b64 exec, exec, s[88:89]
	s_and_saveexec_b64 s[88:89], s[90:91]
	s_xor_b64 s[88:89], exec, s[88:89]
	s_cbranch_execz .LBB2_1194
; %bb.1193:                             ;   in Loop: Header=BB2_1158 Depth=2
	ds_write_b32 v0, v28
	s_trap 2
.LBB2_1194:                             ;   in Loop: Header=BB2_1158 Depth=2
	s_or_b64 exec, exec, s[78:79]
	;;#ASMSTART
	s_wakeup
	;;#ASMEND
.LBB2_1195:                             ;   in Loop: Header=BB2_1158 Depth=2
	s_or_b64 exec, exec, s[76:77]
.LBB2_1196:                             ;   in Loop: Header=BB2_1158 Depth=2
	s_andn2_saveexec_b64 s[42:43], s[42:43]
	s_cbranch_execz .LBB2_1198
; %bb.1197:                             ;   in Loop: Header=BB2_1158 Depth=2
	s_waitcnt vmcnt(0) lgkmcnt(0)
	buffer_wbinvl1_vol
	s_barrier
.LBB2_1198:                             ;   in Loop: Header=BB2_1158 Depth=2
	s_or_b64 exec, exec, s[42:43]
.LBB2_1199:                             ;   in Loop: Header=BB2_1158 Depth=2
	s_or_b64 exec, exec, s[26:27]
	v_sub_u32_e32 v0, v3, v8
	v_min_i32_e32 v54, v54, v0
	s_and_saveexec_b64 s[26:27], s[24:25]
	s_xor_b64 s[26:27], exec, s[26:27]
	s_cbranch_execz .LBB2_1203
; %bb.1200:                             ;   in Loop: Header=BB2_1158 Depth=2
	s_trap 2
	ds_read_b32 v0, v0
	v_cmp_lt_i32_e32 vcc, 0, v54
	s_waitcnt lgkmcnt(0)
	v_readfirstlane_b32 s42, v0
	s_cmp_eq_u32 s42, 0
	s_cselect_b64 s[42:43], -1, 0
	v_and_b32_e32 v0, 16, v60
	s_and_b64 s[42:43], vcc, s[42:43]
	v_cmp_ne_u32_e32 vcc, 0, v0
	s_and_b64 s[76:77], vcc, s[42:43]
	s_and_saveexec_b64 s[42:43], s[76:77]
	s_cbranch_execz .LBB2_1202
; %bb.1201:                             ;   in Loop: Header=BB2_1158 Depth=2
	s_waitcnt vmcnt(0)
	buffer_wbinvl1_vol
.LBB2_1202:                             ;   in Loop: Header=BB2_1158 Depth=2
	s_or_b64 exec, exec, s[42:43]
.LBB2_1203:                             ;   in Loop: Header=BB2_1158 Depth=2
	s_andn2_saveexec_b64 s[26:27], s[26:27]
	s_cbranch_execz .LBB2_1222
; %bb.1204:                             ;   in Loop: Header=BB2_1158 Depth=2
	s_and_saveexec_b64 s[42:43], s[56:57]
	s_xor_b64 s[42:43], exec, s[42:43]
	s_cbranch_execz .LBB2_1219
; %bb.1205:                             ;   in Loop: Header=BB2_1158 Depth=2
	s_and_saveexec_b64 s[76:77], s[16:17]
	s_cbranch_execz .LBB2_1218
; %bb.1206:                             ;   in Loop: Header=BB2_1158 Depth=2
	s_mov_b64 s[88:89], exec
	v_mbcnt_lo_u32_b32 v0, s88, 0
	v_mbcnt_hi_u32_b32 v0, s89, v0
	v_cmp_eq_u32_e32 vcc, 0, v0
	;;#ASMSTART
	s_waitcnt lgkmcnt(0) vmcnt(0)
	;;#ASMEND
	s_and_saveexec_b64 s[78:79], vcc
	s_cbranch_execz .LBB2_1208
; %bb.1207:                             ;   in Loop: Header=BB2_1158 Depth=2
	s_bcnt1_i32_b64 s75, s[88:89]
	v_mov_b32_e32 v9, s75
	v_mov_b32_e32 v10, v2
	s_waitcnt lgkmcnt(0)
	ds_add_u64 v0, v[9:10]
	s_trap 2
.LBB2_1208:                             ;   in Loop: Header=BB2_1158 Depth=2
	s_or_b64 exec, exec, s[78:79]
	s_trap 2
	ds_read_b64 v[9:10], v0
	s_waitcnt lgkmcnt(0)
	v_add_co_u32_e32 v12, vcc, v12, v62
	v_addc_co_u32_e32 v13, vcc, 0, v13, vcc
	v_cmp_lt_u64_e32 vcc, v[9:10], v[12:13]
	s_and_saveexec_b64 s[78:79], vcc
	s_cbranch_execz .LBB2_1217
; %bb.1209:                             ;   in Loop: Header=BB2_1158 Depth=2
	s_mov_b32 s75, 0
	s_mov_b64 s[88:89], 0
                                        ; implicit-def: $sgpr90_sgpr91
                                        ; implicit-def: $sgpr92_sgpr93
	s_branch .LBB2_1211
.LBB2_1210:                             ;   in Loop: Header=BB2_1211 Depth=3
	s_or_b64 exec, exec, s[30:31]
	s_and_b64 s[94:95], exec, vcc
	s_or_b64 s[88:89], s[94:95], s[88:89]
	s_andn2_b64 s[90:91], s[90:91], exec
	s_and_b64 s[94:95], s[92:93], exec
	s_or_b64 s[90:91], s[90:91], s[94:95]
	s_andn2_b64 exec, exec, s[88:89]
	s_cbranch_execz .LBB2_1215
.LBB2_1211:                             ;   Parent Loop BB2_47 Depth=1
                                        ;     Parent Loop BB2_1158 Depth=2
                                        ; =>    This Inner Loop Header: Depth=3
	s_add_i32 s75, s75, 1
	s_cmpk_lg_i32 s75, 0x2710
	s_cselect_b64 s[94:95], -1, 0
	s_and_b64 vcc, exec, s[94:95]
	s_cbranch_vccz .LBB2_1213
; %bb.1212:                             ;   in Loop: Header=BB2_1211 Depth=3
	s_mov_b64 vcc, -1
	s_or_b64 s[92:93], s[92:93], exec
	s_and_saveexec_b64 s[30:31], s[94:95]
	s_cbranch_execz .LBB2_1210
	s_branch .LBB2_1214
.LBB2_1213:                             ;   in Loop: Header=BB2_1211 Depth=3
	s_trap 2
	ds_read_b64 v[9:10], v0
	s_andn2_b64 s[94:95], s[94:95], exec
	s_mov_b32 s75, 0
	s_waitcnt vmcnt(0) lgkmcnt(0)
	flat_load_dword v0, v[9:10] glc
	s_waitcnt vmcnt(0) lgkmcnt(0)
	buffer_wbinvl1_vol
	v_cmp_eq_u32_e32 vcc, 0, v0
	s_and_b64 vcc, vcc, exec
	s_or_b64 s[94:95], s[94:95], vcc
	s_mov_b64 vcc, -1
	s_or_b64 s[92:93], s[92:93], exec
	s_and_saveexec_b64 s[30:31], s[94:95]
	s_cbranch_execz .LBB2_1210
.LBB2_1214:                             ;   in Loop: Header=BB2_1211 Depth=3
	s_sleep 1
	s_trap 2
	ds_read_b64 v[9:10], v0
	s_waitcnt lgkmcnt(0)
	s_andn2_b64 s[92:93], s[92:93], exec
	v_cmp_ge_u64_e32 vcc, v[9:10], v[12:13]
	s_orn2_b64 vcc, vcc, exec
	s_branch .LBB2_1210
.LBB2_1215:                             ;   in Loop: Header=BB2_1158 Depth=2
	s_or_b64 exec, exec, s[88:89]
	s_and_saveexec_b64 s[88:89], s[90:91]
	s_xor_b64 s[88:89], exec, s[88:89]
	s_cbranch_execz .LBB2_1217
; %bb.1216:                             ;   in Loop: Header=BB2_1158 Depth=2
	ds_write_b32 v0, v28
	s_trap 2
.LBB2_1217:                             ;   in Loop: Header=BB2_1158 Depth=2
	s_or_b64 exec, exec, s[78:79]
	;;#ASMSTART
	s_wakeup
	;;#ASMEND
.LBB2_1218:                             ;   in Loop: Header=BB2_1158 Depth=2
	s_or_b64 exec, exec, s[76:77]
.LBB2_1219:                             ;   in Loop: Header=BB2_1158 Depth=2
	s_andn2_saveexec_b64 s[42:43], s[42:43]
	s_cbranch_execz .LBB2_1221
; %bb.1220:                             ;   in Loop: Header=BB2_1158 Depth=2
	;;#ASMSTART
	s_waitcnt lgkmcnt(0) vmcnt(0)
	;;#ASMEND
	s_waitcnt vmcnt(0) lgkmcnt(0)
	s_barrier
.LBB2_1221:                             ;   in Loop: Header=BB2_1158 Depth=2
	s_or_b64 exec, exec, s[42:43]
.LBB2_1222:                             ;   in Loop: Header=BB2_1158 Depth=2
	s_or_b64 exec, exec, s[26:27]
	v_and_b32_e32 v0, 32, v60
	v_cmp_ne_u32_e32 vcc, 0, v0
	s_and_saveexec_b64 s[26:27], vcc
	s_cbranch_execz .LBB2_1157
; %bb.1223:                             ;   in Loop: Header=BB2_1158 Depth=2
	v_add_co_u32_e32 v38, vcc, 2, v38
	v_addc_co_u32_e32 v39, vcc, 0, v39, vcc
	flat_store_dwordx2 v[20:21], v[38:39]
	s_branch .LBB2_1157
.LBB2_1224:
	s_or_b64 exec, exec, s[58:59]
	buffer_load_dword v17, off, s[0:3], s33 offset:196 ; 4-byte Folded Reload
	buffer_load_dword v31, off, s[0:3], s33 offset:200 ; 4-byte Folded Reload
	;; [unrolled: 1-line block ×5, first 2 shown]
.LBB2_1225:
	s_or_b64 exec, exec, s[46:47]
	v_and_b32_e32 v0, 0x800, v60
	v_cmp_eq_u32_e32 vcc, 0, v0
	s_and_saveexec_b64 s[6:7], vcc
	s_cbranch_execz .LBB2_1258
; %bb.1226:
	v_and_b32_e32 v0, 48, v60
	v_cmp_ne_u32_e32 vcc, 0, v0
	s_and_saveexec_b64 s[4:5], vcc
	s_cbranch_execz .LBB2_1228
; %bb.1227:
	s_waitcnt vmcnt(0)
	flat_store_dwordx2 v[29:30], v[38:39] offset:104
.LBB2_1228:
	s_or_b64 exec, exec, s[4:5]
	s_movk_i32 s4, 0x88
	v_and_b32_e32 v0, 0x88, v60
	v_cmp_eq_u32_e32 vcc, s4, v0
	s_and_saveexec_b64 s[10:11], vcc
	s_cbranch_execz .LBB2_1238
; %bb.1229:
	v_add_u32_e32 v0, 6, v38
	v_and_b32_e32 v0, 7, v0
	v_mad_u64_u32 v[2:3], s[4:5], v0, 24, v[34:35]
	v_and_b32_e32 v4, 64, v60
	v_cmp_eq_u32_e64 s[4:5], 0, v4
	flat_load_dwordx2 v[0:1], v[2:3] offset:8 glc
	s_waitcnt vmcnt(0)
	s_mov_b32 s22, 0
	s_waitcnt lgkmcnt(0)
	v_cmp_ne_u64_e32 vcc, -1, v[0:1]
	s_and_b64 s[4:5], vcc, s[4:5]
	s_and_b64 exec, exec, s[4:5]
	s_cbranch_execz .LBB2_1238
; %bb.1230:
	s_mov_b64 s[4:5], 0
                                        ; implicit-def: $sgpr12_sgpr13
                                        ; implicit-def: $sgpr14_sgpr15
	s_branch .LBB2_1233
.LBB2_1231:                             ;   in Loop: Header=BB2_1233 Depth=1
	flat_load_dwordx2 v[4:5], v[2:3] offset:8 glc
	s_waitcnt vmcnt(0)
	s_andn2_b64 s[14:15], s[14:15], exec
	s_waitcnt lgkmcnt(0)
	v_cmp_eq_u64_e32 vcc, -1, v[4:5]
	s_orn2_b64 s[18:19], vcc, exec
.LBB2_1232:                             ;   in Loop: Header=BB2_1233 Depth=1
	s_or_b64 exec, exec, s[20:21]
	s_and_b64 s[16:17], exec, s[18:19]
	s_or_b64 s[4:5], s[16:17], s[4:5]
	s_andn2_b64 s[12:13], s[12:13], exec
	s_and_b64 s[16:17], s[14:15], exec
	s_or_b64 s[12:13], s[12:13], s[16:17]
	s_andn2_b64 exec, exec, s[4:5]
	s_cbranch_execz .LBB2_1236
.LBB2_1233:                             ; =>This Inner Loop Header: Depth=1
	s_cmpk_lt_i32 s22, 0x270f
	s_cselect_b64 s[16:17], -1, 0
	s_and_b64 vcc, exec, s[16:17]
	s_cbranch_vccnz .LBB2_1235
; %bb.1234:                             ;   in Loop: Header=BB2_1233 Depth=1
	s_trap 2
	ds_read_b64 v[0:1], v0
	s_andn2_b64 s[16:17], s[16:17], exec
	s_mov_b32 s22, 0
	s_waitcnt lgkmcnt(0)
	flat_load_dword v0, v[0:1] glc
	s_waitcnt vmcnt(0) lgkmcnt(0)
	buffer_wbinvl1_vol
	v_cmp_eq_u32_e32 vcc, 0, v0
	s_and_b64 s[18:19], vcc, exec
	s_or_b64 s[16:17], s[16:17], s[18:19]
	s_mov_b64 s[18:19], -1
	s_or_b64 s[14:15], s[14:15], exec
	s_and_saveexec_b64 s[20:21], s[16:17]
	s_cbranch_execz .LBB2_1232
	s_branch .LBB2_1231
.LBB2_1235:                             ;   in Loop: Header=BB2_1233 Depth=1
	s_add_i32 s22, s22, 1
                                        ; implicit-def: $vgpr0
	s_mov_b64 s[18:19], -1
	s_or_b64 s[14:15], s[14:15], exec
	s_and_saveexec_b64 s[20:21], s[16:17]
	s_cbranch_execz .LBB2_1232
	s_branch .LBB2_1231
.LBB2_1236:
	s_or_b64 exec, exec, s[4:5]
	s_and_saveexec_b64 s[4:5], s[12:13]
	s_xor_b64 s[4:5], exec, s[4:5]
	s_cbranch_execz .LBB2_1238
; %bb.1237:
	ds_write_b32 v0, v0
	s_trap 2
.LBB2_1238:
	s_or_b64 exec, exec, s[10:11]
	v_and_b32_e32 v0, 0x2000, v60
	v_cmp_ne_u32_e32 vcc, 0, v0
	s_and_saveexec_b64 s[4:5], vcc
	s_cbranch_execz .LBB2_1240
; %bb.1239:
	s_trap 2
	ds_read_b64 v[0:1], v0
	buffer_load_dword v2, off, s[0:3], s33 offset:216 ; 4-byte Folded Reload
	buffer_load_dword v3, off, s[0:3], s33 offset:220 ; 4-byte Folded Reload
	s_waitcnt vmcnt(0) lgkmcnt(0)
	flat_store_dwordx2 v[2:3], v[0:1] offset:16
.LBB2_1240:
	s_or_b64 exec, exec, s[4:5]
	s_waitcnt vmcnt(0)
	v_cmp_ne_u32_e32 vcc, 64, v17
	s_and_b64 exec, exec, vcc
	s_cbranch_execz .LBB2_1258
; %bb.1241:
	v_cmp_ne_u32_sdwa s[4:5], v17, v18 src0_sel:DWORD src1_sel:WORD_0
	s_and_saveexec_b64 s[10:11], s[4:5]
	s_xor_b64 s[4:5], exec, s[10:11]
	s_cbranch_execz .LBB2_1256
; %bb.1242:
	v_and_b32_e32 v0, 63, v31
	v_cmp_eq_u32_e32 vcc, 0, v0
	s_and_saveexec_b64 s[10:11], vcc
	s_cbranch_execz .LBB2_1255
; %bb.1243:
	s_mov_b64 s[14:15], exec
	v_mbcnt_lo_u32_b32 v0, s14, 0
	v_mbcnt_hi_u32_b32 v0, s15, v0
	v_cmp_eq_u32_e32 vcc, 0, v0
	s_waitcnt lgkmcnt(0)
	buffer_wbinvl1_vol
	s_and_saveexec_b64 s[12:13], vcc
	s_cbranch_execz .LBB2_1245
; %bb.1244:
	s_bcnt1_i32_b64 s14, s[14:15]
	v_mov_b32_e32 v0, s14
	v_mov_b32_e32 v1, 0
	ds_add_u64 v0, v[0:1]
	s_trap 2
.LBB2_1245:
	s_or_b64 exec, exec, s[12:13]
	v_lshrrev_b32_e32 v0, 6, v17
	s_trap 2
	ds_read_b64 v[2:3], v0
	s_waitcnt lgkmcnt(0)
	v_add_co_u32_e32 v0, vcc, v12, v0
	v_addc_co_u32_e32 v1, vcc, 0, v13, vcc
	v_cmp_lt_u64_e32 vcc, v[2:3], v[0:1]
	s_and_saveexec_b64 s[12:13], vcc
	s_cbranch_execz .LBB2_1254
; %bb.1246:
	s_mov_b32 s26, 0
	s_mov_b64 s[14:15], 0
                                        ; implicit-def: $sgpr16_sgpr17
                                        ; implicit-def: $sgpr18_sgpr19
	s_branch .LBB2_1248
.LBB2_1247:                             ;   in Loop: Header=BB2_1248 Depth=1
	s_or_b64 exec, exec, s[22:23]
	s_and_b64 s[20:21], exec, s[24:25]
	s_or_b64 s[14:15], s[20:21], s[14:15]
	s_andn2_b64 s[16:17], s[16:17], exec
	s_and_b64 s[20:21], s[18:19], exec
	s_or_b64 s[16:17], s[16:17], s[20:21]
	s_andn2_b64 exec, exec, s[14:15]
	s_cbranch_execz .LBB2_1252
.LBB2_1248:                             ; =>This Inner Loop Header: Depth=1
	s_add_i32 s26, s26, 1
	s_cmpk_lg_i32 s26, 0x2710
	s_cselect_b64 s[20:21], -1, 0
	s_and_b64 vcc, exec, s[20:21]
	s_cbranch_vccz .LBB2_1250
; %bb.1249:                             ;   in Loop: Header=BB2_1248 Depth=1
	s_mov_b64 s[24:25], -1
	s_or_b64 s[18:19], s[18:19], exec
	s_and_saveexec_b64 s[22:23], s[20:21]
	s_cbranch_execz .LBB2_1247
	s_branch .LBB2_1251
.LBB2_1250:                             ;   in Loop: Header=BB2_1248 Depth=1
	s_trap 2
	ds_read_b64 v[2:3], v0
	s_andn2_b64 s[20:21], s[20:21], exec
	s_mov_b32 s26, 0
	s_waitcnt lgkmcnt(0)
	flat_load_dword v2, v[2:3] glc
	s_waitcnt vmcnt(0) lgkmcnt(0)
	buffer_wbinvl1_vol
	v_cmp_eq_u32_e32 vcc, 0, v2
	s_and_b64 s[22:23], vcc, exec
	s_or_b64 s[20:21], s[20:21], s[22:23]
	s_mov_b64 s[24:25], -1
	s_or_b64 s[18:19], s[18:19], exec
	s_and_saveexec_b64 s[22:23], s[20:21]
	s_cbranch_execz .LBB2_1247
.LBB2_1251:                             ;   in Loop: Header=BB2_1248 Depth=1
	s_sleep 1
	s_trap 2
	ds_read_b64 v[2:3], v0
	s_waitcnt lgkmcnt(0)
	s_andn2_b64 s[18:19], s[18:19], exec
	v_cmp_ge_u64_e32 vcc, v[2:3], v[0:1]
	s_orn2_b64 s[24:25], vcc, exec
	s_branch .LBB2_1247
.LBB2_1252:
	s_or_b64 exec, exec, s[14:15]
	s_and_saveexec_b64 s[14:15], s[16:17]
	s_xor_b64 s[14:15], exec, s[14:15]
	s_cbranch_execz .LBB2_1254
; %bb.1253:
	v_mov_b32_e32 v0, 1
	ds_write_b32 v0, v0
	s_trap 2
.LBB2_1254:
	s_or_b64 exec, exec, s[12:13]
	;;#ASMSTART
	s_wakeup
	;;#ASMEND
.LBB2_1255:
	s_or_b64 exec, exec, s[10:11]
.LBB2_1256:
	s_andn2_saveexec_b64 s[4:5], s[4:5]
	s_cbranch_execz .LBB2_1258
; %bb.1257:
	s_waitcnt lgkmcnt(0)
	buffer_wbinvl1_vol
	s_barrier
.LBB2_1258:
	s_or_b64 exec, exec, s[6:7]
.LBB2_1259:
	s_andn2_saveexec_b64 s[26:27], s[44:45]
	s_cbranch_execz .LBB2_1261
; %bb.1260:
	s_getpc_b64 s[4:5]
	s_add_u32 s4, s4, __PRETTY_FUNCTION__._ZN10PrimitivesIf8FuncProdIfE12FanSymmetricILi1EELi0E11ProtoSimpleILi2ELi2ELi0ELi1ELi0ELi0EELi0ELb0ELi0ELi0ELi0EEC2EiiPKiS8_PKvPvmhhhP15ncclDevWorkCollP14ncclDevWorkP2pii@rel32@lo+4
	s_addc_u32 s5, s5, __PRETTY_FUNCTION__._ZN10PrimitivesIf8FuncProdIfE12FanSymmetricILi1EELi0E11ProtoSimpleILi2ELi2ELi0ELi1ELi0ELi0EELi0ELb0ELi0ELi0ELi0EEC2EiiPKiS8_PKvPvmhhhP15ncclDevWorkCollP14ncclDevWorkP2pii@rel32@hi+12
	s_getpc_b64 s[6:7]
	s_add_u32 s6, s6, __assert_fail@rel32@lo+4
	s_addc_u32 s7, s7, __assert_fail@rel32@hi+12
	v_mov_b32_e32 v0, s4
	v_mov_b32_e32 v1, s5
	s_swappc_b64 s[30:31], s[6:7]
	; divergent unreachable
.LBB2_1261:
	s_or_b64 exec, exec, s[26:27]
	buffer_load_dword v62, off, s[0:3], s33 ; 4-byte Folded Reload
	buffer_load_dword v61, off, s[0:3], s33 offset:4 ; 4-byte Folded Reload
	buffer_load_dword v60, off, s[0:3], s33 offset:8 ; 4-byte Folded Reload
	buffer_load_dword v59, off, s[0:3], s33 offset:12 ; 4-byte Folded Reload
	buffer_load_dword v58, off, s[0:3], s33 offset:16 ; 4-byte Folded Reload
	buffer_load_dword v57, off, s[0:3], s33 offset:20 ; 4-byte Folded Reload
	buffer_load_dword v56, off, s[0:3], s33 offset:24 ; 4-byte Folded Reload
	buffer_load_dword v47, off, s[0:3], s33 offset:28 ; 4-byte Folded Reload
	buffer_load_dword v46, off, s[0:3], s33 offset:32 ; 4-byte Folded Reload
	buffer_load_dword v45, off, s[0:3], s33 offset:36 ; 4-byte Folded Reload
	buffer_load_dword v44, off, s[0:3], s33 offset:40 ; 4-byte Folded Reload
	buffer_load_dword v43, off, s[0:3], s33 offset:44 ; 4-byte Folded Reload
	buffer_load_dword v42, off, s[0:3], s33 offset:48 ; 4-byte Folded Reload
	buffer_load_dword v41, off, s[0:3], s33 offset:52 ; 4-byte Folded Reload
	buffer_load_dword v40, off, s[0:3], s33 offset:56 ; 4-byte Folded Reload
	v_readlane_b32 s30, v63, 24
	v_readlane_b32 s31, v63, 25
	v_readlane_b32 s81, v63, 23
	v_readlane_b32 s80, v63, 22
	v_readlane_b32 s71, v63, 21
	v_readlane_b32 s70, v63, 20
	v_readlane_b32 s69, v63, 19
	v_readlane_b32 s68, v63, 18
	v_readlane_b32 s67, v63, 17
	v_readlane_b32 s66, v63, 16
	v_readlane_b32 s65, v63, 15
	v_readlane_b32 s64, v63, 14
	v_readlane_b32 s55, v63, 13
	v_readlane_b32 s54, v63, 12
	v_readlane_b32 s53, v63, 11
	v_readlane_b32 s52, v63, 10
	v_readlane_b32 s51, v63, 9
	v_readlane_b32 s50, v63, 8
	v_readlane_b32 s49, v63, 7
	v_readlane_b32 s48, v63, 6
	v_readlane_b32 s39, v63, 5
	v_readlane_b32 s38, v63, 4
	v_readlane_b32 s37, v63, 3
	v_readlane_b32 s36, v63, 2
	v_readlane_b32 s35, v63, 1
	v_readlane_b32 s34, v63, 0
	s_mov_b32 s32, s33
	v_readlane_b32 s4, v63, 26
	s_or_saveexec_b64 s[6:7], -1
	buffer_load_dword v63, off, s[0:3], s33 offset:224 ; 4-byte Folded Reload
	s_mov_b64 exec, s[6:7]
	s_mov_b32 s33, s4
	s_waitcnt vmcnt(0) lgkmcnt(0)
	s_setpc_b64 s[30:31]
.Lfunc_end2:
	.size	_ZN12_GLOBAL__N_17runRingIf8FuncProdIfE11ProtoSimpleILi2ELi2ELi0ELi1ELi0ELi0EELi0ELi0ELi1ELi0EEEviiP15ncclDevWorkColl, .Lfunc_end2-_ZN12_GLOBAL__N_17runRingIf8FuncProdIfE11ProtoSimpleILi2ELi2ELi0ELi1ELi0ELi0EELi0ELi0ELi1ELi0EEEviiP15ncclDevWorkColl
                                        ; -- End function
	.set .L_ZN12_GLOBAL__N_17runRingIf8FuncProdIfE11ProtoSimpleILi2ELi2ELi0ELi1ELi0ELi0EELi0ELi0ELi1ELi0EEEviiP15ncclDevWorkColl.num_vgpr, max(64, .L__assert_fail.num_vgpr)
	.set .L_ZN12_GLOBAL__N_17runRingIf8FuncProdIfE11ProtoSimpleILi2ELi2ELi0ELi1ELi0ELi0EELi0ELi0ELi1ELi0EEEviiP15ncclDevWorkColl.num_agpr, max(0, .L__assert_fail.num_agpr)
	.set .L_ZN12_GLOBAL__N_17runRingIf8FuncProdIfE11ProtoSimpleILi2ELi2ELi0ELi1ELi0ELi0EELi0ELi0ELi1ELi0EEEviiP15ncclDevWorkColl.numbered_sgpr, max(96, .L__assert_fail.numbered_sgpr)
	.set .L_ZN12_GLOBAL__N_17runRingIf8FuncProdIfE11ProtoSimpleILi2ELi2ELi0ELi1ELi0ELi0EELi0ELi0ELi1ELi0EEEviiP15ncclDevWorkColl.num_named_barrier, max(0, .L__assert_fail.num_named_barrier)
	.set .L_ZN12_GLOBAL__N_17runRingIf8FuncProdIfE11ProtoSimpleILi2ELi2ELi0ELi1ELi0ELi0EELi0ELi0ELi1ELi0EEEviiP15ncclDevWorkColl.private_seg_size, 240+max(.L__assert_fail.private_seg_size)
	.set .L_ZN12_GLOBAL__N_17runRingIf8FuncProdIfE11ProtoSimpleILi2ELi2ELi0ELi1ELi0ELi0EELi0ELi0ELi1ELi0EEEviiP15ncclDevWorkColl.uses_vcc, or(1, .L__assert_fail.uses_vcc)
	.set .L_ZN12_GLOBAL__N_17runRingIf8FuncProdIfE11ProtoSimpleILi2ELi2ELi0ELi1ELi0ELi0EELi0ELi0ELi1ELi0EEEviiP15ncclDevWorkColl.uses_flat_scratch, or(0, .L__assert_fail.uses_flat_scratch)
	.set .L_ZN12_GLOBAL__N_17runRingIf8FuncProdIfE11ProtoSimpleILi2ELi2ELi0ELi1ELi0ELi0EELi0ELi0ELi1ELi0EEEviiP15ncclDevWorkColl.has_dyn_sized_stack, or(0, .L__assert_fail.has_dyn_sized_stack)
	.set .L_ZN12_GLOBAL__N_17runRingIf8FuncProdIfE11ProtoSimpleILi2ELi2ELi0ELi1ELi0ELi0EELi0ELi0ELi1ELi0EEEviiP15ncclDevWorkColl.has_recursion, or(1, .L__assert_fail.has_recursion)
	.set .L_ZN12_GLOBAL__N_17runRingIf8FuncProdIfE11ProtoSimpleILi2ELi2ELi0ELi1ELi0ELi0EELi0ELi0ELi1ELi0EEEviiP15ncclDevWorkColl.has_indirect_call, or(0, .L__assert_fail.has_indirect_call)
	.section	.AMDGPU.csdata,"",@progbits
; Function info:
; codeLenInByte = 38092
; TotalNumSgprs: 100
; NumVgprs: 64
; ScratchSize: 304
; MemoryBound: 1
	.text
	.p2align	2                               ; -- Begin function _Z48ncclDevFunc_AllReduce_RING_SIMPLE_Prod_f32_0_0_1v
	.type	_Z48ncclDevFunc_AllReduce_RING_SIMPLE_Prod_f32_0_0_1v,@function
_Z48ncclDevFunc_AllReduce_RING_SIMPLE_Prod_f32_0_0_1v: ; @_Z48ncclDevFunc_AllReduce_RING_SIMPLE_Prod_f32_0_0_1v
; %bb.0:
	s_waitcnt vmcnt(0) expcnt(0) lgkmcnt(0)
	s_mov_b32 s4, s33
	s_mov_b32 s33, s32
	s_or_saveexec_b64 s[6:7], -1
	buffer_store_dword v43, off, s[0:3], s33 offset:16 ; 4-byte Folded Spill
	s_mov_b64 exec, s[6:7]
	v_writelane_b32 v43, s4, 32
	s_addk_i32 s32, 0x800
	buffer_store_dword v40, off, s[0:3], s33 offset:12 ; 4-byte Folded Spill
	buffer_store_dword v41, off, s[0:3], s33 offset:8 ; 4-byte Folded Spill
	;; [unrolled: 1-line block ×3, first 2 shown]
	buffer_store_dword v63, off, s[0:3], s33 ; 4-byte Folded Spill
	v_writelane_b32 v43, s34, 0
	v_writelane_b32 v43, s35, 1
	;; [unrolled: 1-line block ×32, first 2 shown]
	s_trap 2
	ds_read_b32 v0, v0
	v_mov_b32_e32 v40, v31
	s_mov_b32 s84, s12
	s_mov_b64 s[82:83], s[8:9]
	s_waitcnt lgkmcnt(0)
	v_cmp_gt_i32_e32 vcc, 1, v0
	s_cbranch_vccnz .LBB3_8
; %bb.1:
	s_mov_b32 s85, 0
	v_and_b32_e32 v41, 0x3ff, v40
	v_mov_b32_e32 v42, 6
	s_branch .LBB3_3
.LBB3_2:                                ;   in Loop: Header=BB3_3 Depth=1
	s_or_b64 exec, exec, s[86:87]
	s_trap 2
	ds_read_b32 v0, v0
	s_add_i32 s85, s85, 1
	s_waitcnt lgkmcnt(0)
	v_cmp_lt_i32_e32 vcc, s85, v0
	s_cbranch_vccz .LBB3_8
.LBB3_3:                                ; =>This Inner Loop Header: Depth=1
	s_trap 2
	ds_read_b32 v0, v0
	s_cmp_eq_u32 s85, 0
	s_cbranch_scc1 .LBB3_6
; %bb.4:                                ;   in Loop: Header=BB3_3 Depth=1
	s_trap 2
	s_waitcnt lgkmcnt(0)
	ds_read_b32 v1, v0
	s_waitcnt lgkmcnt(0)
	v_xor_b32_e32 v1, v1, v0
	v_and_b32_e32 v1, 0xff0000, v1
	v_cmp_eq_u32_e32 vcc, 0, v1
	s_cbranch_vccnz .LBB3_6
; %bb.5:                                ;   in Loop: Header=BB3_3 Depth=1
	s_waitcnt vmcnt(0)
	s_barrier
	ds_read_b32 v0, v0
.LBB3_6:                                ;   in Loop: Header=BB3_3 Depth=1
	s_waitcnt lgkmcnt(0)
	v_lshlrev_b32_sdwa v1, v42, v0 dst_sel:DWORD dst_unused:UNUSED_PAD src0_sel:DWORD src1_sel:BYTE_2
	v_cmp_lt_u32_e32 vcc, v41, v1
	s_and_saveexec_b64 s[86:87], vcc
	s_cbranch_execz .LBB3_2
; %bb.7:                                ;   in Loop: Header=BB3_3 Depth=1
	s_mov_b64 s[4:5], src_shared_base
	s_getpc_b64 s[6:7]
	s_add_u32 s6, s6, _ZN12_GLOBAL__N_17runRingIf8FuncProdIfE11ProtoSimpleILi2ELi2ELi0ELi1ELi0ELi0EELi0ELi0ELi1ELi0EEEviiP15ncclDevWorkColl@rel32@lo+4
	s_addc_u32 s7, s7, _ZN12_GLOBAL__N_17runRingIf8FuncProdIfE11ProtoSimpleILi2ELi2ELi0ELi1ELi0ELi0EELi0ELi0ELi1ELi0EEEviiP15ncclDevWorkColl@rel32@hi+12
	s_mov_b64 s[8:9], s[82:83]
	s_mov_b32 s12, s84
	v_mov_b32_e32 v31, v40
	v_mov_b32_e32 v0, v41
	;; [unrolled: 1-line block ×3, first 2 shown]
	s_swappc_b64 s[30:31], s[6:7]
	s_branch .LBB3_2
.LBB3_8:
	buffer_load_dword v63, off, s[0:3], s33 ; 4-byte Folded Reload
	buffer_load_dword v42, off, s[0:3], s33 offset:4 ; 4-byte Folded Reload
	buffer_load_dword v41, off, s[0:3], s33 offset:8 ; 4-byte Folded Reload
	;; [unrolled: 1-line block ×3, first 2 shown]
	v_readlane_b32 s30, v43, 30
	v_readlane_b32 s31, v43, 31
	;; [unrolled: 1-line block ×32, first 2 shown]
	s_mov_b32 s32, s33
	v_readlane_b32 s4, v43, 32
	s_or_saveexec_b64 s[6:7], -1
	buffer_load_dword v43, off, s[0:3], s33 offset:16 ; 4-byte Folded Reload
	s_mov_b64 exec, s[6:7]
	s_mov_b32 s33, s4
	s_waitcnt vmcnt(0)
	s_setpc_b64 s[30:31]
.Lfunc_end3:
	.size	_Z48ncclDevFunc_AllReduce_RING_SIMPLE_Prod_f32_0_0_1v, .Lfunc_end3-_Z48ncclDevFunc_AllReduce_RING_SIMPLE_Prod_f32_0_0_1v
                                        ; -- End function
	.set .L_Z48ncclDevFunc_AllReduce_RING_SIMPLE_Prod_f32_0_0_1v.num_vgpr, max(64, .L_ZN12_GLOBAL__N_17runRingIf8FuncProdIfE11ProtoSimpleILi2ELi2ELi0ELi1ELi0ELi0EELi0ELi0ELi1ELi0EEEviiP15ncclDevWorkColl.num_vgpr)
	.set .L_Z48ncclDevFunc_AllReduce_RING_SIMPLE_Prod_f32_0_0_1v.num_agpr, max(0, .L_ZN12_GLOBAL__N_17runRingIf8FuncProdIfE11ProtoSimpleILi2ELi2ELi0ELi1ELi0ELi0EELi0ELi0ELi1ELi0EEEviiP15ncclDevWorkColl.num_agpr)
	.set .L_Z48ncclDevFunc_AllReduce_RING_SIMPLE_Prod_f32_0_0_1v.numbered_sgpr, max(88, .L_ZN12_GLOBAL__N_17runRingIf8FuncProdIfE11ProtoSimpleILi2ELi2ELi0ELi1ELi0ELi0EELi0ELi0ELi1ELi0EEEviiP15ncclDevWorkColl.numbered_sgpr)
	.set .L_Z48ncclDevFunc_AllReduce_RING_SIMPLE_Prod_f32_0_0_1v.num_named_barrier, max(0, .L_ZN12_GLOBAL__N_17runRingIf8FuncProdIfE11ProtoSimpleILi2ELi2ELi0ELi1ELi0ELi0EELi0ELi0ELi1ELi0EEEviiP15ncclDevWorkColl.num_named_barrier)
	.set .L_Z48ncclDevFunc_AllReduce_RING_SIMPLE_Prod_f32_0_0_1v.private_seg_size, 32+max(.L_ZN12_GLOBAL__N_17runRingIf8FuncProdIfE11ProtoSimpleILi2ELi2ELi0ELi1ELi0ELi0EELi0ELi0ELi1ELi0EEEviiP15ncclDevWorkColl.private_seg_size)
	.set .L_Z48ncclDevFunc_AllReduce_RING_SIMPLE_Prod_f32_0_0_1v.uses_vcc, or(1, .L_ZN12_GLOBAL__N_17runRingIf8FuncProdIfE11ProtoSimpleILi2ELi2ELi0ELi1ELi0ELi0EELi0ELi0ELi1ELi0EEEviiP15ncclDevWorkColl.uses_vcc)
	.set .L_Z48ncclDevFunc_AllReduce_RING_SIMPLE_Prod_f32_0_0_1v.uses_flat_scratch, or(0, .L_ZN12_GLOBAL__N_17runRingIf8FuncProdIfE11ProtoSimpleILi2ELi2ELi0ELi1ELi0ELi0EELi0ELi0ELi1ELi0EEEviiP15ncclDevWorkColl.uses_flat_scratch)
	.set .L_Z48ncclDevFunc_AllReduce_RING_SIMPLE_Prod_f32_0_0_1v.has_dyn_sized_stack, or(0, .L_ZN12_GLOBAL__N_17runRingIf8FuncProdIfE11ProtoSimpleILi2ELi2ELi0ELi1ELi0ELi0EELi0ELi0ELi1ELi0EEEviiP15ncclDevWorkColl.has_dyn_sized_stack)
	.set .L_Z48ncclDevFunc_AllReduce_RING_SIMPLE_Prod_f32_0_0_1v.has_recursion, or(1, .L_ZN12_GLOBAL__N_17runRingIf8FuncProdIfE11ProtoSimpleILi2ELi2ELi0ELi1ELi0ELi0EELi0ELi0ELi1ELi0EEEviiP15ncclDevWorkColl.has_recursion)
	.set .L_Z48ncclDevFunc_AllReduce_RING_SIMPLE_Prod_f32_0_0_1v.has_indirect_call, or(0, .L_ZN12_GLOBAL__N_17runRingIf8FuncProdIfE11ProtoSimpleILi2ELi2ELi0ELi1ELi0ELi0EELi0ELi0ELi1ELi0EEEviiP15ncclDevWorkColl.has_indirect_call)
	.section	.AMDGPU.csdata,"",@progbits
; Function info:
; codeLenInByte = 896
; TotalNumSgprs: 100
; NumVgprs: 64
; ScratchSize: 336
; MemoryBound: 0
	.text
	.p2align	2                               ; -- Begin function _ZN12_GLOBAL__N_17runRingIf8FuncProdIfE11ProtoSimpleILi2ELi2ELi0ELi2ELi0ELi0EELi0ELi0ELi2ELi0EEEviiP15ncclDevWorkColl
	.type	_ZN12_GLOBAL__N_17runRingIf8FuncProdIfE11ProtoSimpleILi2ELi2ELi0ELi2ELi0ELi0EELi0ELi0ELi2ELi0EEEviiP15ncclDevWorkColl,@function
_ZN12_GLOBAL__N_17runRingIf8FuncProdIfE11ProtoSimpleILi2ELi2ELi0ELi2ELi0ELi0EELi0ELi0ELi2ELi0EEEviiP15ncclDevWorkColl: ; @_ZN12_GLOBAL__N_17runRingIf8FuncProdIfE11ProtoSimpleILi2ELi2ELi0ELi2ELi0ELi0EELi0ELi0ELi2ELi0EEEviiP15ncclDevWorkColl
; %bb.0:
	s_waitcnt vmcnt(0) expcnt(0) lgkmcnt(0)
	s_mov_b32 s4, s33
	s_mov_b32 s33, s32
	s_or_saveexec_b64 s[6:7], -1
	buffer_store_dword v63, off, s[0:3], s33 offset:236 ; 4-byte Folded Spill
	s_mov_b64 exec, s[6:7]
	v_writelane_b32 v63, s4, 26
	s_addk_i32 s32, 0x4000
	buffer_store_dword v40, off, s[0:3], s33 offset:56 ; 4-byte Folded Spill
	buffer_store_dword v41, off, s[0:3], s33 offset:52 ; 4-byte Folded Spill
	buffer_store_dword v42, off, s[0:3], s33 offset:48 ; 4-byte Folded Spill
	buffer_store_dword v43, off, s[0:3], s33 offset:44 ; 4-byte Folded Spill
	buffer_store_dword v44, off, s[0:3], s33 offset:40 ; 4-byte Folded Spill
	buffer_store_dword v45, off, s[0:3], s33 offset:36 ; 4-byte Folded Spill
	buffer_store_dword v46, off, s[0:3], s33 offset:32 ; 4-byte Folded Spill
	buffer_store_dword v47, off, s[0:3], s33 offset:28 ; 4-byte Folded Spill
	buffer_store_dword v56, off, s[0:3], s33 offset:24 ; 4-byte Folded Spill
	buffer_store_dword v57, off, s[0:3], s33 offset:20 ; 4-byte Folded Spill
	buffer_store_dword v58, off, s[0:3], s33 offset:16 ; 4-byte Folded Spill
	buffer_store_dword v59, off, s[0:3], s33 offset:12 ; 4-byte Folded Spill
	buffer_store_dword v60, off, s[0:3], s33 offset:8 ; 4-byte Folded Spill
	buffer_store_dword v61, off, s[0:3], s33 offset:4 ; 4-byte Folded Spill
	buffer_store_dword v62, off, s[0:3], s33 ; 4-byte Folded Spill
	v_writelane_b32 v63, s34, 0
	v_writelane_b32 v63, s35, 1
	;; [unrolled: 1-line block ×26, first 2 shown]
	v_mov_b32_e32 v16, v1
	s_trap 2
	flat_load_dword v1, v[2:3]
	ds_read_b32 v4, v0
	v_mov_b32_e32 v58, v0
                                        ; implicit-def: $vgpr28_vgpr29
                                        ; implicit-def: $vgpr5_vgpr6
                                        ; kill: killed $vgpr5_vgpr6
                                        ; implicit-def: $vgpr22_vgpr23
	s_waitcnt lgkmcnt(0)
	v_readfirstlane_b32 s52, v4
	s_waitcnt vmcnt(0)
	v_cmp_ne_u32_sdwa s[4:5], v4, v1 src0_sel:DWORD src1_sel:BYTE_0
	s_and_saveexec_b64 s[6:7], s[4:5]
	s_xor_b64 s[4:5], exec, s[6:7]
	s_cbranch_execz .LBB4_6
; %bb.1:
	v_not_b32_sdwa v0, v1 dst_sel:DWORD dst_unused:UNUSED_PAD src0_sel:BYTE_0
	v_cmp_ne_u32_sdwa s[6:7], v4, v1 src0_sel:DWORD src1_sel:BYTE_1
                                        ; implicit-def: $vgpr28_vgpr29
                                        ; implicit-def: $vgpr5_vgpr6
                                        ; kill: killed $vgpr5_vgpr6
                                        ; implicit-def: $vgpr22_vgpr23
	s_and_saveexec_b64 s[10:11], s[6:7]
	s_xor_b64 s[6:7], exec, s[10:11]
	s_cbranch_execz .LBB4_3
; %bb.2:
	flat_load_dwordx4 v[5:8], v[2:3] offset:72
	flat_load_dwordx2 v[9:10], v[2:3] offset:96
	v_add_u32_e32 v0, v4, v0
	v_ashrrev_i32_e32 v1, 31, v0
	s_waitcnt vmcnt(0) lgkmcnt(0)
	v_mul_lo_u32 v1, v7, v1
	v_mad_u64_u32 v[4:5], s[10:11], v7, v0, v[5:6]
	v_mul_lo_u32 v0, v8, v0
	v_mov_b32_e32 v23, v8
	v_lshrrev_b64 v[28:29], 14, v[9:10]
	v_mov_b32_e32 v22, v7
	v_add3_u32 v5, v0, v5, v1
	buffer_store_dword v4, off, s[0:3], s33 offset:176 ; 4-byte Folded Spill
	s_nop 0
	buffer_store_dword v5, off, s[0:3], s33 offset:180 ; 4-byte Folded Spill
                                        ; implicit-def: $vgpr1
                                        ; implicit-def: $vgpr0
.LBB4_3:
	s_andn2_saveexec_b64 s[6:7], s[6:7]
	s_cbranch_execz .LBB4_5
; %bb.4:
	flat_load_dwordx4 v[4:7], v[2:3] offset:72
	flat_load_dwordx4 v[22:25], v[2:3] offset:88
	v_add_u32_sdwa v0, v1, v0 dst_sel:DWORD dst_unused:UNUSED_PAD src0_sel:BYTE_1 src1_sel:DWORD
	v_ashrrev_i32_e32 v1, 31, v0
	s_waitcnt vmcnt(0) lgkmcnt(0)
	v_mul_lo_u32 v1, v6, v1
	v_mad_u64_u32 v[4:5], s[10:11], v6, v0, v[4:5]
	v_mul_lo_u32 v0, v7, v0
	v_lshrrev_b32_e32 v28, 3, v25
	v_add3_u32 v5, v0, v5, v1
	buffer_store_dword v4, off, s[0:3], s33 offset:176 ; 4-byte Folded Spill
	s_nop 0
	buffer_store_dword v5, off, s[0:3], s33 offset:180 ; 4-byte Folded Spill
.LBB4_5:
	s_or_b64 exec, exec, s[6:7]
.LBB4_6:
	s_andn2_saveexec_b64 s[4:5], s[4:5]
	s_cbranch_execz .LBB4_8
; %bb.7:
	flat_load_dwordx2 v[0:1], v[2:3] offset:96
	flat_load_dwordx2 v[22:23], v[2:3] offset:72
	s_waitcnt vmcnt(0) lgkmcnt(0)
	v_lshlrev_b64 v[28:29], 7, v[0:1]
	v_mov_b32_e32 v0, 0
	v_mov_b32_e32 v1, 0
	buffer_store_dword v0, off, s[0:3], s33 offset:176 ; 4-byte Folded Spill
	s_nop 0
	buffer_store_dword v1, off, s[0:3], s33 offset:180 ; 4-byte Folded Spill
.LBB4_8:
	s_or_b64 exec, exec, s[4:5]
	s_trap 2
	ds_read_b64 v[0:1], v0
	s_waitcnt lgkmcnt(0)
	v_cmp_ne_u32_e32 vcc, -1, v0
	v_cndmask_b32_e64 v17, 0, 1, vcc
	v_cmp_ne_u32_e32 vcc, -1, v1
	v_addc_co_u32_e64 v0, s[4:5], 0, v17, vcc
	v_lshlrev_b32_e32 v1, 1, v0
	v_cmp_le_u32_e64 s[4:5], v1, v16
	s_and_saveexec_b64 s[6:7], s[4:5]
	s_xor_b64 s[44:45], exec, s[6:7]
	s_cbranch_execz .LBB4_1258
; %bb.9:
	flat_load_dwordx4 v[10:13], v[2:3] offset:16
	flat_load_dwordx2 v[4:5], v[2:3] offset:104
	flat_load_ushort v7, v[2:3] offset:8
	flat_load_dword v6, v[2:3] offset:4
	s_trap 2
	s_load_dword s4, s[8:9], 0x0
	v_mov_b32_e32 v1, 0
	v_mov_b32_e32 v59, 4
	s_waitcnt lgkmcnt(0)
	s_cmp_lt_u32 s12, s4
	s_cselect_b32 s4, 12, 18
	s_add_u32 s4, s8, s4
	s_addc_u32 s5, s9, 0
	global_load_ushort v18, v1, s[4:5]
	ds_read_b32 v1, v0
	v_cmp_ge_i32_e64 s[4:5], v58, v17
	s_waitcnt lgkmcnt(0)
	v_readfirstlane_b32 s18, v1
	s_and_saveexec_b64 s[6:7], s[4:5]
	s_cbranch_execz .LBB4_19
; %bb.10:
	v_cmp_ge_u32_e64 s[4:5], v58, v0
                                        ; implicit-def: $vgpr59
	s_and_saveexec_b64 s[10:11], s[4:5]
	s_xor_b64 s[4:5], exec, s[10:11]
	s_cbranch_execz .LBB4_16
; %bb.11:
	v_cndmask_b32_e64 v1, 0, 1, vcc
	v_sub_u32_e32 v1, v16, v1
	v_cmp_ge_u32_e32 vcc, v58, v1
	s_and_saveexec_b64 s[10:11], vcc
	s_xor_b64 s[10:11], exec, s[10:11]
; %bb.12:
                                        ; implicit-def: $vgpr0
; %bb.13:
	s_or_saveexec_b64 s[10:11], s[10:11]
	v_mov_b32_e32 v59, 16
	s_xor_b64 exec, exec, s[10:11]
; %bb.14:
	v_sub_u32_e32 v0, v16, v0
	v_cmp_lt_i32_e32 vcc, v58, v0
	v_cndmask_b32_e64 v59, 32, 0, vcc
; %bb.15:
	s_or_b64 exec, exec, s[10:11]
.LBB4_16:
	s_andn2_saveexec_b64 s[4:5], s[4:5]
; %bb.17:
	v_mov_b32_e32 v59, 8
; %bb.18:
	s_or_b64 exec, exec, s[4:5]
.LBB4_19:
	s_or_b64 exec, exec, s[6:7]
	v_and_b32_e32 v0, 36, v59
	v_cmp_ne_u32_e32 vcc, 0, v0
	v_mov_b32_e32 v8, -1
	s_and_saveexec_b64 s[4:5], vcc
	s_cbranch_execz .LBB4_21
; %bb.20:
	s_trap 2
	ds_read_b32 v8, v0
.LBB4_21:
	s_or_b64 exec, exec, s[4:5]
	v_and_b32_e32 v0, 24, v59
	v_cmp_ne_u32_e64 s[4:5], 0, v0
	s_and_saveexec_b64 s[6:7], s[4:5]
	s_cbranch_execz .LBB4_23
; %bb.22:
	s_trap 2
	s_waitcnt lgkmcnt(0)
	ds_read_b32 v8, v0
.LBB4_23:
	s_or_b64 exec, exec, s[6:7]
	s_waitcnt vmcnt(0)
	v_lshrrev_b64 v[0:1], 31, v[6:7]
	v_mov_b32_e32 v14, 0
	v_mov_b32_e32 v42, 0
	;; [unrolled: 1-line block ×4, first 2 shown]
	v_and_b32_e32 v0, 3, v0
                                        ; implicit-def: $vgpr6_vgpr7
                                        ; kill: killed $vgpr6_vgpr7
                                        ; implicit-def: $vgpr60
                                        ; implicit-def: $vgpr36_vgpr37
                                        ; implicit-def: $vgpr29_vgpr30
                                        ; implicit-def: $vgpr26_vgpr27
                                        ; implicit-def: $vgpr20_vgpr21
	s_and_saveexec_b64 s[4:5], vcc
	s_cbranch_execz .LBB4_33
; %bb.24:
	s_trap 2
	ds_read_b64 v[6:7], v0
	s_waitcnt lgkmcnt(1)
	v_ashrrev_i32_e32 v9, 31, v8
	v_lshlrev_b64 v[14:15], 3, v[8:9]
	v_and_b32_e32 v1, 0xffff, v0
	s_movk_i32 s6, 0xa8
	s_waitcnt lgkmcnt(0)
	v_add_co_u32_e32 v6, vcc, v6, v14
	v_addc_co_u32_e32 v7, vcc, v7, v15, vcc
	flat_load_dwordx2 v[6:7], v[6:7]
	s_waitcnt vmcnt(0) lgkmcnt(0)
	v_mad_u64_u32 v[24:25], s[6:7], v1, s6, v[6:7]
                                        ; implicit-def: $vgpr6_vgpr7
                                        ; kill: killed $vgpr6_vgpr7
	flat_load_dword v1, v[24:25] offset:640
	s_waitcnt vmcnt(0) lgkmcnt(0)
	v_cmp_eq_u32_e32 vcc, 1, v1
	s_and_saveexec_b64 s[6:7], vcc
	s_cbranch_execz .LBB4_26
; %bb.25:
	flat_load_dwordx2 v[14:15], v[24:25] offset:648
	v_or_b32_e32 v59, 0x2000, v59
	s_waitcnt vmcnt(0) lgkmcnt(0)
	flat_load_dwordx2 v[6:7], v[14:15]
	s_trap 2
	s_waitcnt vmcnt(0) lgkmcnt(0)
	ds_write_b64 v0, v[6:7]
	flat_load_dwordx2 v[6:7], v[14:15] offset:8
	s_waitcnt vmcnt(0) lgkmcnt(0)
	ds_write_b64 v0, v[6:7]
	buffer_store_dword v14, off, s[0:3], s33 offset:228 ; 4-byte Folded Spill
	s_nop 0
	buffer_store_dword v15, off, s[0:3], s33 offset:232 ; 4-byte Folded Spill
	flat_load_dwordx2 v[6:7], v[14:15] offset:16
	s_waitcnt vmcnt(0) lgkmcnt(0)
	ds_write_b64 v0, v[6:7]
.LBB4_26:
	s_or_b64 exec, exec, s[6:7]
	flat_load_dwordx2 v[6:7], v[24:25] offset:608
	v_and_b32_e32 v1, 32, v59
                                        ; implicit-def: $vgpr20_vgpr21
	s_waitcnt vmcnt(0) lgkmcnt(0)
	v_add_co_u32_e32 v6, vcc, 3, v6
	v_addc_co_u32_e32 v37, vcc, 0, v7, vcc
	v_and_b32_e32 v36, -4, v6
	v_cmp_ne_u32_e32 vcc, 0, v1
	s_and_saveexec_b64 s[6:7], vcc
	s_cbranch_execz .LBB4_28
; %bb.27:
	flat_load_dwordx2 v[20:21], v[24:25] offset:560
	s_waitcnt vmcnt(0) lgkmcnt(0)
	flat_store_dwordx2 v[20:21], v[36:37]
.LBB4_28:
	s_or_b64 exec, exec, s[6:7]
	v_add_co_u32_e32 v14, vcc, 0x1f8, v24
	v_addc_co_u32_e32 v15, vcc, 0, v25, vcc
	v_and_b32_e32 v1, 4, v59
	v_mov_b32_e32 v42, 0
	v_mov_b32_e32 v43, 0
	v_cmp_ne_u32_e32 vcc, 0, v1
                                        ; implicit-def: $vgpr60
                                        ; implicit-def: $vgpr29_vgpr30
                                        ; implicit-def: $vgpr26_vgpr27
	s_and_saveexec_b64 s[6:7], vcc
	s_cbranch_execz .LBB4_32
; %bb.29:
	v_and_b32_e32 v1, 0x800, v59
	v_cmp_eq_u32_e32 vcc, 0, v1
	s_and_saveexec_b64 s[10:11], vcc
	s_cbranch_execz .LBB4_31
; %bb.30:
	s_trap 2
	ds_write_b64 v0, v[14:15]
.LBB4_31:
	s_or_b64 exec, exec, s[10:11]
	flat_load_dwordx2 v[20:21], v[24:25] offset:552
	v_or_b32_e32 v6, 0x100, v59
	s_waitcnt vmcnt(0) lgkmcnt(0)
	flat_load_dwordx2 v[26:27], v[20:21] glc
	flat_load_dword v1, v[24:25] offset:576
	flat_load_dwordx2 v[42:43], v[24:25] offset:600
	flat_load_dwordx2 v[29:30], v[24:25] offset:520
	s_waitcnt vmcnt(0) lgkmcnt(0)
	v_ashrrev_i32_e32 v60, 2, v1
	v_cmp_eq_u64_e32 vcc, 0, v[42:43]
	v_cndmask_b32_e32 v59, v6, v59, vcc
.LBB4_32:
	s_or_b64 exec, exec, s[6:7]
.LBB4_33:
	s_or_b64 exec, exec, s[4:5]
	v_and_b32_e32 v1, 24, v59
	v_cmp_ne_u32_e32 vcc, 0, v1
                                        ; implicit-def: $vgpr56_vgpr57
	s_and_saveexec_b64 s[4:5], vcc
	s_cbranch_execz .LBB4_41
; %bb.34:
	s_trap 2
	ds_read_b64 v[6:7], v0
	s_waitcnt lgkmcnt(0)
	v_ashrrev_i32_e32 v9, 31, v8
	v_lshlrev_b64 v[8:9], 3, v[8:9]
	v_and_b32_e32 v0, 0xffff, v0
	s_movk_i32 s6, 0xa8
	v_add_co_u32_e32 v6, vcc, v6, v8
	v_addc_co_u32_e32 v7, vcc, v7, v9, vcc
	flat_load_dwordx2 v[6:7], v[6:7]
                                        ; implicit-def: $vgpr56_vgpr57
	s_waitcnt vmcnt(0) lgkmcnt(0)
	v_mad_u64_u32 v[14:15], s[6:7], v0, s6, v[6:7]
	v_or_b32_e32 v0, 0x100, v59
	flat_load_dwordx4 v[42:45], v[14:15] offset:96
	s_waitcnt vmcnt(0) lgkmcnt(0)
	v_cmp_eq_u64_e32 vcc, 0, v[42:43]
	v_cndmask_b32_e32 v59, v0, v59, vcc
	v_and_b32_e32 v0, 16, v59
	v_cmp_ne_u32_e32 vcc, 0, v0
	s_and_saveexec_b64 s[6:7], vcc
	s_cbranch_execz .LBB4_36
; %bb.35:
	flat_load_dwordx2 v[20:21], v[14:15] offset:48
	flat_load_dwordx2 v[56:57], v[14:15] offset:120
	;; [unrolled: 1-line block ×3, first 2 shown]
.LBB4_36:
	s_or_b64 exec, exec, s[6:7]
	v_add_co_u32_e32 v0, vcc, 3, v44
	v_addc_co_u32_e32 v37, vcc, 0, v45, vcc
	v_and_b32_e32 v36, -4, v0
	v_and_b32_e32 v0, 8, v59
	v_cmp_ne_u32_e32 vcc, 0, v0
	s_and_saveexec_b64 s[6:7], vcc
	s_cbranch_execz .LBB4_40
; %bb.37:
	v_and_b32_e32 v0, 0x800, v59
	v_cmp_eq_u32_e32 vcc, 0, v0
	s_and_saveexec_b64 s[10:11], vcc
	s_cbranch_execz .LBB4_39
; %bb.38:
	s_trap 2
	ds_write_b64 v0, v[14:15]
.LBB4_39:
	s_or_b64 exec, exec, s[10:11]
	s_waitcnt vmcnt(0) lgkmcnt(0)
	flat_load_dwordx2 v[20:21], v[14:15] offset:56
	s_waitcnt vmcnt(0) lgkmcnt(0)
	flat_load_dwordx2 v[26:27], v[20:21] glc
	flat_load_dword v0, v[14:15] offset:72
	flat_load_dwordx2 v[29:30], v[14:15] offset:16
	s_waitcnt vmcnt(0) lgkmcnt(0)
	v_ashrrev_i32_e32 v60, 2, v0
.LBB4_40:
	s_or_b64 exec, exec, s[6:7]
.LBB4_41:
	s_or_b64 exec, exec, s[4:5]
	v_cmp_eq_u32_e64 s[4:5], 0, v58
	s_and_saveexec_b64 s[6:7], s[4:5]
	s_cbranch_execz .LBB4_43
; %bb.42:
	flat_load_dwordx2 v[0:1], v[2:3] offset:32
	v_mov_b32_e32 v6, v12
	v_mov_b32_e32 v7, v13
	s_waitcnt lgkmcnt(0)
	v_mov_b32_e32 v8, v10
	v_mov_b32_e32 v9, v11
	s_waitcnt vmcnt(0)
	ds_write2_b64 v0, v[6:7], v[8:9] offset1:1
	s_trap 2
	ds_write_b64 v0, v[0:1]
	ds_write_b64 v0, v[4:5]
.LBB4_43:
	s_or_b64 exec, exec, s[6:7]
	v_mov_b32_e32 v12, 0
	v_cmp_lt_i64_e32 vcc, 0, v[22:23]
	v_mov_b32_e32 v13, 0
	s_and_saveexec_b64 s[46:47], vcc
	s_cbranch_execz .LBB4_1224
; %bb.44:
	buffer_store_dword v14, off, s[0:3], s33 offset:220 ; 4-byte Folded Spill
	s_nop 0
	buffer_store_dword v15, off, s[0:3], s33 offset:224 ; 4-byte Folded Spill
	flat_load_dword v0, v[2:3] offset:4
	s_ashr_i32 s16, s18, 31
	v_and_b32_e32 v1, 63, v31
	v_ashrrev_i32_e32 v3, 31, v58
	v_lshrrev_b32_e32 v61, 6, v16
	s_lshr_b32 s21, s16, 29
	v_cmp_eq_u32_e64 s[16:17], 0, v1
	v_lshrrev_b32_e32 v1, 26, v3
	v_lshlrev_b32_e32 v4, 2, v16
	v_lshlrev_b32_e32 v14, 10, v61
	v_add_u32_e32 v1, v58, v1
	s_movk_i32 s19, 0x400
	v_and_b32_e32 v15, 0xff00, v4
	v_add_u32_e32 v4, 0xfffffc00, v14
	v_ashrrev_i32_e32 v32, 6, v1
	v_and_b32_e32 v1, 0xffffffc0, v1
	buffer_store_dword v31, off, s[0:3], s33 offset:212 ; 4-byte Folded Spill
	s_trap 2
	buffer_store_dword v18, off, s[0:3], s33 offset:216 ; 4-byte Folded Spill
	v_cmp_ne_u32_sdwa s[56:57], v16, v18 src0_sel:DWORD src1_sel:WORD_0
	s_add_i32 s24, s18, s21
	v_ashrrev_i32_e32 v18, 31, v4
	v_sub_u32_e32 v5, v58, v1
	v_lshlrev_b32_e32 v1, 12, v32
	v_add_co_u32_e64 v19, s[18:19], s19, v4
	s_movk_i32 s20, 0x100
	v_add_u32_e32 v47, 0xffffff00, v15
	v_lshlrev_b32_e32 v3, 11, v32
	v_addc_co_u32_e64 v4, s[18:19], 0, v18, s[18:19]
	v_lshl_add_u32 v1, v5, 4, v1
	v_mov_b32_e32 v2, 0
	v_ashrrev_i32_e32 v46, 31, v47
	buffer_store_dword v4, off, s[0:3], s33 offset:76 ; 4-byte Folded Spill
	v_add_co_u32_e64 v4, s[18:19], s20, v47
	v_sub_u32_e32 v3, v1, v3
	v_and_b32_e32 v6, 0xfffff80, v28
	v_mov_b32_e32 v7, v2
	buffer_store_dword v4, off, s[0:3], s33 offset:92 ; 4-byte Folded Spill
	v_addc_co_u32_e64 v4, s[18:19], 0, v46, s[18:19]
	buffer_store_dword v3, off, s[0:3], s33 offset:124 ; 4-byte Folded Spill
	v_ashrrev_i32_e32 v3, 31, v3
	buffer_store_dword v16, off, s[0:3], s33 offset:208 ; 4-byte Folded Spill
	buffer_store_dword v4, off, s[0:3], s33 offset:96 ; 4-byte Folded Spill
	;; [unrolled: 1-line block ×5, first 2 shown]
	s_nop 0
	buffer_store_dword v7, off, s[0:3], s33 offset:120 ; 4-byte Folded Spill
	s_ashr_i32 s53, s52, 31
	s_ashr_i32 s25, s24, 5
	s_add_u32 s55, s52, -1
	s_addc_u32 s64, s53, -1
	s_add_i32 s65, s52, s52
	s_not_b32 s26, s52
	s_cmp_gt_i32 s52, 0
	s_cselect_b32 s26, s26, -1
	s_ashr_i32 s24, s24, 31
	s_lshr_b32 s24, s24, 28
	s_add_i32 s66, s26, s65
	s_add_i32 s25, s25, s24
	s_ashr_i32 s67, s66, 31
	s_ashr_i32 s68, s25, 4
	s_cmp_gt_i32 s52, 2
	s_cselect_b64 s[60:61], -1, 0
	s_add_i32 s26, s52, 1
	v_cmp_ge_i32_e32 vcc, v58, v16
	s_waitcnt vmcnt(0) lgkmcnt(0)
	v_cmp_eq_u64_e64 s[12:13], 0, v[56:57]
	v_cmp_ne_u64_e64 s[14:15], 0, v[56:57]
	v_mov_b32_e32 v50, 0
	v_mov_b32_e32 v12, 0
	v_ashrrev_i32_e32 v33, 31, v60
	v_cmp_eq_u32_e64 s[6:7], 64, v16
	v_cmp_ne_u32_e64 s[10:11], 64, v16
	s_mov_b64 s[58:59], 0
	v_mov_b32_e32 v24, 1
	s_movk_i32 s54, 0x108
	v_mov_b32_e32 v25, 0xc8
	v_mov_b32_e32 v31, 0x90
	v_and_b32_e32 v0, 1, v0
	v_cmp_eq_u32_e64 s[24:25], 1, v0
	s_xor_b64 s[62:63], s[24:25], -1
	s_cmp_ge_i32 s26, s52
	s_cselect_b32 s27, s52, 0
	s_sub_i32 s70, s26, s27
	v_lshlrev_b32_e32 v62, 12, v61
	v_lshlrev_b32_e32 v28, 11, v61
	v_cmp_gt_i32_e64 s[18:19], 1, v5
	v_cmp_lt_i32_e64 s[20:21], v5, v17
	v_cmp_le_i32_e64 s[22:23], v5, v17
	v_ashrrev_i32_e32 v49, 31, v1
	s_add_i32 s69, s52, -2
	s_xor_b64 s[72:73], vcc, -1
	s_ashr_i32 s74, s53, 31
	v_mov_b32_e32 v51, 0
	v_mov_b32_e32 v13, 0
	s_ashr_i32 s71, s70, 31
	v_mad_i64_i32 v[3:4], s[26:27], v6, s52, 0
	buffer_store_dword v58, off, s[0:3], s33 offset:156 ; 4-byte Folded Spill
	buffer_store_dword v56, off, s[0:3], s33 offset:140 ; 4-byte Folded Spill
	s_nop 0
	buffer_store_dword v57, off, s[0:3], s33 offset:144 ; 4-byte Folded Spill
	buffer_store_dword v32, off, s[0:3], s33 offset:104 ; 4-byte Folded Spill
	;; [unrolled: 1-line block ×6, first 2 shown]
	s_nop 0
	buffer_store_dword v4, off, s[0:3], s33 offset:204 ; 4-byte Folded Spill
	buffer_store_dword v22, off, s[0:3], s33 offset:184 ; 4-byte Folded Spill
	s_nop 0
	buffer_store_dword v23, off, s[0:3], s33 offset:188 ; 4-byte Folded Spill
	buffer_store_dword v24, off, s[0:3], s33 offset:192 ; 4-byte Folded Spill
	;; [unrolled: 1-line block ×4, first 2 shown]
	s_nop 0
	buffer_store_dword v43, off, s[0:3], s33 offset:64 ; 4-byte Folded Spill
	buffer_store_dword v44, off, s[0:3], s33 offset:68 ; 4-byte Folded Spill
	;; [unrolled: 1-line block ×3, first 2 shown]
	s_branch .LBB4_47
.LBB4_45:                               ;   in Loop: Header=BB4_47 Depth=1
	s_or_b64 exec, exec, s[40:41]
.LBB4_46:                               ;   in Loop: Header=BB4_47 Depth=1
	s_or_b64 exec, exec, s[28:29]
	buffer_load_dword v3, off, s[0:3], s33 offset:200 ; 4-byte Folded Reload
	buffer_load_dword v4, off, s[0:3], s33 offset:204 ; 4-byte Folded Reload
	buffer_load_dword v22, off, s[0:3], s33 offset:184 ; 4-byte Folded Reload
	buffer_load_dword v23, off, s[0:3], s33 offset:188 ; 4-byte Folded Reload
	buffer_load_dword v24, off, s[0:3], s33 offset:192 ; 4-byte Folded Reload
	buffer_load_dword v25, off, s[0:3], s33 offset:196 ; 4-byte Folded Reload
	s_waitcnt vmcnt(0)
	v_mov_b32_e32 v24, 1
	v_mov_b32_e32 v25, 0xc8
	v_add_co_u32_e32 v50, vcc, v50, v3
	v_addc_co_u32_e32 v51, vcc, v51, v4, vcc
	v_cmp_ge_i64_e32 vcc, v[50:51], v[22:23]
	s_or_b64 s[58:59], vcc, s[58:59]
	s_andn2_b64 exec, exec, s[58:59]
	s_cbranch_execz .LBB4_1223
.LBB4_47:                               ; =>This Loop Header: Depth=1
                                        ;     Child Loop BB4_57 Depth 2
                                        ;       Child Loop BB4_65 Depth 3
                                        ;       Child Loop BB4_89 Depth 3
	;; [unrolled: 1-line block ×9, first 2 shown]
                                        ;     Child Loop BB4_199 Depth 2
                                        ;       Child Loop BB4_205 Depth 3
                                        ;       Child Loop BB4_229 Depth 3
	;; [unrolled: 1-line block ×3, first 2 shown]
                                        ;     Child Loop BB4_271 Depth 2
                                        ;       Child Loop BB4_274 Depth 3
                                        ;         Child Loop BB4_282 Depth 4
                                        ;         Child Loop BB4_310 Depth 4
	;; [unrolled: 1-line block ×9, first 2 shown]
                                        ;       Child Loop BB4_420 Depth 3
                                        ;         Child Loop BB4_426 Depth 4
                                        ;         Child Loop BB4_454 Depth 4
	;; [unrolled: 1-line block ×3, first 2 shown]
                                        ;     Child Loop BB4_496 Depth 2
                                        ;       Child Loop BB4_504 Depth 3
                                        ;       Child Loop BB4_532 Depth 3
	;; [unrolled: 1-line block ×9, first 2 shown]
                                        ;         Child Loop BB4_586 Depth 4
                                        ;       Child Loop BB4_595 Depth 3
                                        ;       Child Loop BB4_600 Depth 3
                                        ;         Child Loop BB4_601 Depth 4
                                        ;       Child Loop BB4_639 Depth 3
                                        ;       Child Loop BB4_658 Depth 3
                                        ;     Child Loop BB4_677 Depth 2
                                        ;       Child Loop BB4_683 Depth 3
                                        ;       Child Loop BB4_711 Depth 3
	;; [unrolled: 1-line block ×3, first 2 shown]
                                        ;     Child Loop BB4_752 Depth 2
                                        ;       Child Loop BB4_755 Depth 3
                                        ;         Child Loop BB4_763 Depth 4
                                        ;         Child Loop BB4_791 Depth 4
	;; [unrolled: 1-line block ×9, first 2 shown]
                                        ;           Child Loop BB4_845 Depth 5
                                        ;         Child Loop BB4_854 Depth 4
                                        ;         Child Loop BB4_859 Depth 4
                                        ;           Child Loop BB4_860 Depth 5
                                        ;         Child Loop BB4_900 Depth 4
                                        ;         Child Loop BB4_919 Depth 4
                                        ;       Child Loop BB4_938 Depth 3
                                        ;         Child Loop BB4_944 Depth 4
                                        ;         Child Loop BB4_972 Depth 4
	;; [unrolled: 1-line block ×3, first 2 shown]
                                        ;     Child Loop BB4_1016 Depth 2
                                        ;       Child Loop BB4_1024 Depth 3
                                        ;       Child Loop BB4_1048 Depth 3
	;; [unrolled: 1-line block ×9, first 2 shown]
                                        ;     Child Loop BB4_1157 Depth 2
                                        ;       Child Loop BB4_1163 Depth 3
                                        ;       Child Loop BB4_1187 Depth 3
	;; [unrolled: 1-line block ×3, first 2 shown]
	v_sub_co_u32_e32 v5, vcc, v22, v50
	v_subb_co_u32_e32 v6, vcc, v23, v51, vcc
	buffer_store_dword v5, off, s[0:3], s33 offset:108 ; 4-byte Folded Spill
	s_nop 0
	buffer_store_dword v6, off, s[0:3], s33 offset:112 ; 4-byte Folded Spill
	v_cmp_lt_i64_e32 vcc, v[5:6], v[3:4]
	s_and_saveexec_b64 s[28:29], vcc
	s_cbranch_execz .LBB4_53
; %bb.48:                               ;   in Loop: Header=BB4_47 Depth=1
	buffer_load_dword v4, off, s[0:3], s33 offset:108 ; 4-byte Folded Reload
	buffer_load_dword v5, off, s[0:3], s33 offset:112 ; 4-byte Folded Reload
	v_mov_b32_e32 v3, s64
                                        ; implicit-def: $vgpr8_vgpr9
	s_waitcnt vmcnt(0)
	v_add_co_u32_e32 v0, vcc, s55, v4
	s_waitcnt vmcnt(0)
	v_addc_co_u32_e32 v10, vcc, v3, v5, vcc
	v_or_b32_e32 v3, s53, v10
	v_cmp_ne_u64_e32 vcc, 0, v[2:3]
	s_and_saveexec_b64 s[26:27], vcc
	s_xor_b64 s[40:41], exec, s[26:27]
	s_cbranch_execz .LBB4_50
; %bb.49:                               ;   in Loop: Header=BB4_47 Depth=1
	s_add_u32 s26, s52, s74
	s_mov_b32 s75, s74
	s_addc_u32 s27, s53, s74
	s_xor_b64 s[42:43], s[26:27], s[74:75]
	v_cvt_f32_u32_e32 v3, s42
	v_cvt_f32_u32_e32 v4, s43
	s_sub_u32 s75, 0, s42
	s_subb_u32 s76, 0, s43
	v_ashrrev_i32_e32 v7, 31, v10
	v_mac_f32_e32 v3, 0x4f800000, v4
	v_rcp_f32_e32 v3, v3
	v_add_co_u32_e32 v0, vcc, v0, v7
	v_xor_b32_e32 v0, v0, v7
	v_mul_f32_e32 v3, 0x5f7ffffc, v3
	v_mul_f32_e32 v4, 0x2f800000, v3
	v_trunc_f32_e32 v4, v4
	v_mac_f32_e32 v3, 0xcf800000, v4
	v_cvt_u32_f32_e32 v4, v4
	v_cvt_u32_f32_e32 v3, v3
	v_addc_co_u32_e32 v5, vcc, v10, v7, vcc
	v_readfirstlane_b32 s77, v4
	v_readfirstlane_b32 s26, v3
	s_mul_i32 s27, s75, s77
	s_mul_hi_u32 s79, s75, s26
	s_mul_i32 s78, s76, s26
	s_add_i32 s27, s79, s27
	s_add_i32 s27, s27, s78
	s_mul_i32 s88, s75, s26
	s_mul_i32 s79, s26, s27
	s_mul_hi_u32 s89, s26, s88
	s_mul_hi_u32 s78, s26, s27
	s_add_u32 s79, s89, s79
	s_addc_u32 s78, 0, s78
	s_mul_hi_u32 s90, s77, s88
	s_mul_i32 s88, s77, s88
	s_add_u32 s79, s79, s88
	s_mul_hi_u32 s89, s77, s27
	s_addc_u32 s78, s78, s90
	s_addc_u32 s79, s89, 0
	s_mul_i32 s27, s77, s27
	s_add_u32 s27, s78, s27
	s_addc_u32 s78, 0, s79
	s_add_u32 s79, s26, s27
	s_cselect_b64 s[26:27], -1, 0
	s_cmp_lg_u64 s[26:27], 0
	s_addc_u32 s77, s77, s78
	s_mul_i32 s26, s75, s77
	s_mul_hi_u32 s27, s75, s79
	s_add_i32 s26, s27, s26
	s_mul_i32 s76, s76, s79
	s_add_i32 s26, s26, s76
	s_mul_i32 s75, s75, s79
	s_mul_hi_u32 s76, s77, s75
	s_mul_i32 s78, s77, s75
	s_mul_i32 s89, s79, s26
	s_mul_hi_u32 s75, s79, s75
	s_mul_hi_u32 s88, s79, s26
	s_add_u32 s75, s75, s89
	s_addc_u32 s88, 0, s88
	s_add_u32 s75, s75, s78
	s_mul_hi_u32 s27, s77, s26
	s_addc_u32 s75, s88, s76
	s_addc_u32 s27, s27, 0
	s_mul_i32 s26, s77, s26
	s_add_u32 s26, s75, s26
	s_addc_u32 s75, 0, s27
	s_add_u32 s76, s79, s26
	s_cselect_b64 s[26:27], -1, 0
	s_cmp_lg_u64 s[26:27], 0
	s_addc_u32 s75, s77, s75
	v_mad_u64_u32 v[3:4], s[26:27], v0, s75, 0
	v_mul_hi_u32 v6, v0, s76
	v_xor_b32_e32 v8, v5, v7
	v_add_co_u32_e32 v9, vcc, v6, v3
	v_addc_co_u32_e32 v10, vcc, 0, v4, vcc
	v_mad_u64_u32 v[3:4], s[26:27], v8, s76, 0
	v_mad_u64_u32 v[5:6], s[26:27], v8, s75, 0
	v_add_co_u32_e32 v3, vcc, v9, v3
	v_addc_co_u32_e32 v3, vcc, v10, v4, vcc
	v_addc_co_u32_e32 v4, vcc, 0, v6, vcc
	v_add_co_u32_e32 v5, vcc, v3, v5
	v_addc_co_u32_e32 v6, vcc, 0, v4, vcc
	v_mul_lo_u32 v9, s43, v5
	v_mul_lo_u32 v10, s42, v6
	v_mad_u64_u32 v[3:4], s[26:27], s42, v5, 0
	v_add3_u32 v4, v4, v10, v9
	v_sub_u32_e32 v9, v8, v4
	v_mov_b32_e32 v10, s43
	v_sub_co_u32_e32 v0, vcc, v0, v3
	v_subb_co_u32_e64 v3, s[26:27], v9, v10, vcc
	v_subrev_co_u32_e64 v9, s[26:27], s42, v0
	v_subbrev_co_u32_e64 v3, s[26:27], 0, v3, s[26:27]
	v_cmp_le_u32_e64 s[26:27], s43, v3
	v_cndmask_b32_e64 v10, 0, -1, s[26:27]
	v_cmp_le_u32_e64 s[26:27], s42, v9
	v_cndmask_b32_e64 v9, 0, -1, s[26:27]
	v_cmp_eq_u32_e64 s[26:27], s43, v3
	v_cndmask_b32_e64 v3, v10, v9, s[26:27]
	v_add_co_u32_e64 v9, s[26:27], 2, v5
	v_subb_co_u32_e32 v4, vcc, v8, v4, vcc
	v_addc_co_u32_e64 v10, s[26:27], 0, v6, s[26:27]
	v_cmp_le_u32_e32 vcc, s43, v4
	v_add_co_u32_e64 v11, s[26:27], 1, v5
	v_cndmask_b32_e64 v8, 0, -1, vcc
	v_cmp_le_u32_e32 vcc, s42, v0
	v_addc_co_u32_e64 v16, s[26:27], 0, v6, s[26:27]
	v_cndmask_b32_e64 v0, 0, -1, vcc
	v_cmp_eq_u32_e32 vcc, s43, v4
	v_cmp_ne_u32_e64 s[26:27], 0, v3
	v_cndmask_b32_e32 v0, v8, v0, vcc
	v_cndmask_b32_e64 v3, v16, v10, s[26:27]
	v_cmp_ne_u32_e32 vcc, 0, v0
	v_cndmask_b32_e32 v0, v6, v3, vcc
	v_cndmask_b32_e64 v3, v11, v9, s[26:27]
	v_cndmask_b32_e32 v3, v5, v3, vcc
	v_xor_b32_e32 v4, s74, v7
	v_xor_b32_e32 v3, v3, v4
	;; [unrolled: 1-line block ×3, first 2 shown]
	v_sub_co_u32_e32 v8, vcc, v3, v4
	v_subb_co_u32_e32 v9, vcc, v0, v4, vcc
                                        ; implicit-def: $vgpr0
.LBB4_50:                               ;   in Loop: Header=BB4_47 Depth=1
	s_andn2_saveexec_b64 s[40:41], s[40:41]
	s_cbranch_execz .LBB4_52
; %bb.51:                               ;   in Loop: Header=BB4_47 Depth=1
	v_cvt_f32_u32_e32 v3, s52
	s_sub_i32 s26, 0, s52
	v_mov_b32_e32 v9, v2
	v_rcp_iflag_f32_e32 v3, v3
	v_mul_f32_e32 v3, 0x4f7ffffe, v3
	v_cvt_u32_f32_e32 v3, v3
	v_mul_lo_u32 v4, s26, v3
	v_mul_hi_u32 v4, v3, v4
	v_add_u32_e32 v3, v3, v4
	v_mul_hi_u32 v3, v0, v3
	v_mul_lo_u32 v4, v3, s52
	v_sub_u32_e32 v0, v0, v4
	v_cmp_le_u32_e32 vcc, s52, v0
	v_subrev_u32_e32 v4, s52, v0
	v_cndmask_b32_e32 v0, v0, v4, vcc
	v_cmp_le_u32_e64 s[26:27], s52, v0
	v_add_u32_e32 v0, 1, v3
	v_cndmask_b32_e32 v0, v3, v0, vcc
	v_add_u32_e32 v3, 1, v0
	v_cndmask_b32_e64 v8, v0, v3, s[26:27]
.LBB4_52:                               ;   in Loop: Header=BB4_47 Depth=1
	s_or_b64 exec, exec, s[40:41]
	v_add_co_u32_e32 v0, vcc, 3, v8
	v_addc_co_u32_e32 v4, vcc, 0, v9, vcc
	v_and_b32_e32 v3, -4, v0
	buffer_store_dword v3, off, s[0:3], s33 offset:116 ; 4-byte Folded Spill
	s_nop 0
	buffer_store_dword v4, off, s[0:3], s33 offset:120 ; 4-byte Folded Spill
.LBB4_53:                               ;   in Loop: Header=BB4_47 Depth=1
	s_or_b64 exec, exec, s[28:29]
	buffer_store_dword v50, off, s[0:3], s33 offset:148 ; 4-byte Folded Spill
	s_nop 0
	buffer_store_dword v51, off, s[0:3], s33 offset:152 ; 4-byte Folded Spill
	buffer_load_dword v7, off, s[0:3], s33 offset:116 ; 4-byte Folded Reload
	buffer_load_dword v8, off, s[0:3], s33 offset:120 ; 4-byte Folded Reload
	v_mov_b32_e32 v10, 0
	s_waitcnt vmcnt(0)
	v_mul_lo_u32 v3, v7, s67
	s_waitcnt vmcnt(0)
	v_mul_lo_u32 v0, v8, s66
	v_mad_u64_u32 v[50:51], s[26:27], v7, s66, 0
	v_add3_u32 v51, v51, v3, v0
	buffer_load_dword v3, off, s[0:3], s33 offset:176 ; 4-byte Folded Reload
	buffer_load_dword v4, off, s[0:3], s33 offset:180 ; 4-byte Folded Reload
	;; [unrolled: 1-line block ×4, first 2 shown]
	v_mov_b32_e32 v0, 0
	s_waitcnt vmcnt(0)
	v_add_co_u32_e32 v22, vcc, v5, v3
	s_waitcnt vmcnt(0)
	v_addc_co_u32_e32 v23, vcc, v6, v4, vcc
	buffer_load_dword v3, off, s[0:3], s33 offset:108 ; 4-byte Folded Reload
	buffer_load_dword v4, off, s[0:3], s33 offset:112 ; 4-byte Folded Reload
	s_waitcnt vmcnt(0)
	v_sub_co_u32_e32 v3, vcc, v3, v50
	s_waitcnt vmcnt(0)
	v_subb_co_u32_e32 v4, vcc, v4, v51, vcc
	v_cmp_lt_i64_e32 vcc, v[7:8], v[3:4]
	v_cndmask_b32_e32 v3, v3, v7, vcc
	v_max_i32_e32 v44, 0, v3
	v_add_u32_e32 v4, 31, v44
	v_lshrrev_b32_e32 v4, 1, v4
	v_and_b32_e32 v4, 0x3ffffff0, v4
	v_max_i32_e32 v8, s68, v4
	v_cmp_lt_i32_e32 vcc, 0, v3
	s_and_b64 s[26:27], s[72:73], vcc
	s_mov_b64 s[28:29], exec
	s_and_b64 s[26:27], s[28:29], s[26:27]
	buffer_store_dword v22, off, s[0:3], s33 offset:132 ; 4-byte Folded Spill
	s_nop 0
	buffer_store_dword v23, off, s[0:3], s33 offset:136 ; 4-byte Folded Spill
	s_mov_b64 exec, s[26:27]
	s_cbranch_execz .LBB4_195
; %bb.54:                               ;   in Loop: Header=BB4_47 Depth=1
	v_lshlrev_b64 v[50:51], 2, v[50:51]
	s_mov_b32 s75, 1
	s_mov_b64 s[42:43], -1
	v_mov_b32_e32 v10, 0
	s_mov_b64 s[40:41], 0
	s_branch .LBB4_57
.LBB4_55:                               ;   in Loop: Header=BB4_57 Depth=2
	s_or_b64 exec, exec, s[76:77]
	v_add_co_u32_e32 v36, vcc, 2, v36
	v_addc_co_u32_e32 v37, vcc, 0, v37, vcc
	flat_store_dwordx2 v[20:21], v[36:37]
.LBB4_56:                               ;   in Loop: Header=BB4_57 Depth=2
	s_or_b64 exec, exec, s[26:27]
	v_add_u32_e32 v10, v8, v10
	v_cmp_ge_i32_e32 vcc, v10, v44
	s_xor_b64 s[26:27], s[42:43], -1
	s_or_b64 s[26:27], s[26:27], vcc
	s_and_b64 s[26:27], exec, s[26:27]
	s_or_b64 s[40:41], s[26:27], s[40:41]
	s_mov_b64 s[42:43], 0
	v_mov_b32_e32 v0, s75
	s_mov_b32 s75, 2
	s_andn2_b64 exec, exec, s[40:41]
	s_cbranch_execz .LBB4_194
.LBB4_57:                               ;   Parent Loop BB4_47 Depth=1
                                        ; =>  This Loop Header: Depth=2
                                        ;       Child Loop BB4_65 Depth 3
                                        ;       Child Loop BB4_89 Depth 3
	;; [unrolled: 1-line block ×9, first 2 shown]
	s_and_saveexec_b64 s[26:27], s[4:5]
	s_cbranch_execz .LBB4_59
; %bb.58:                               ;   in Loop: Header=BB4_57 Depth=2
	s_trap 2
	ds_read_b64 v[3:4], v0
	s_waitcnt vmcnt(0)
	v_lshlrev_b64 v[5:6], 2, v[22:23]
	v_ashrrev_i32_e32 v11, 31, v10
	s_waitcnt lgkmcnt(0)
	v_add_co_u32_e32 v0, vcc, v3, v5
	v_addc_co_u32_e32 v3, vcc, v4, v6, vcc
	v_add_co_u32_e32 v0, vcc, v0, v50
	v_addc_co_u32_e32 v5, vcc, v3, v51, vcc
	v_lshlrev_b64 v[3:4], 2, v[10:11]
	v_add_co_u32_e32 v3, vcc, v0, v3
	v_addc_co_u32_e32 v4, vcc, v5, v4, vcc
	ds_write_b64 v0, v[3:4]
	v_mov_b32_e32 v3, v2
	ds_write_b64 v0, v[2:3]
.LBB4_59:                               ;   in Loop: Header=BB4_57 Depth=2
	s_or_b64 exec, exec, s[26:27]
	v_sub_u32_e32 v0, v44, v10
	v_min_i32_e32 v8, v8, v0
	v_and_b32_e32 v0, 8, v59
	v_cmp_ne_u32_e32 vcc, 0, v0
	s_and_saveexec_b64 s[76:77], vcc
	s_cbranch_execz .LBB4_81
; %bb.60:                               ;   in Loop: Header=BB4_57 Depth=2
	s_waitcnt vmcnt(0) lgkmcnt(0)
	v_add_co_u32_e32 v3, vcc, 8, v26
	v_addc_co_u32_e32 v4, vcc, 0, v27, vcc
	v_add_co_u32_e32 v52, vcc, 2, v36
	v_addc_co_u32_e32 v53, vcc, 0, v37, vcc
	v_cmp_lt_u64_e32 vcc, v[3:4], v[52:53]
	s_and_saveexec_b64 s[78:79], vcc
	s_cbranch_execz .LBB4_72
; %bb.61:                               ;   in Loop: Header=BB4_57 Depth=2
	v_and_b32_e32 v0, 64, v59
	s_mov_b32 s50, 0
	v_cmp_eq_u32_e32 vcc, 0, v0
	s_mov_b64 s[88:89], 0
                                        ; implicit-def: $sgpr90_sgpr91
                                        ; implicit-def: $sgpr92_sgpr93
                                        ; implicit-def: $sgpr94_sgpr95
	s_branch .LBB4_65
.LBB4_62:                               ;   in Loop: Header=BB4_65 Depth=3
	s_waitcnt vmcnt(0) lgkmcnt(0)
	v_add_co_u32_e64 v3, s[26:27], 8, v26
	v_addc_co_u32_e64 v4, s[26:27], 0, v27, s[26:27]
	v_cmp_ge_u64_e64 s[26:27], v[3:4], v[52:53]
	s_or_b64 s[36:37], s[36:37], exec
	s_orn2_b64 s[34:35], s[26:27], exec
.LBB4_63:                               ;   in Loop: Header=BB4_65 Depth=3
	s_or_b64 exec, exec, s[48:49]
	s_andn2_b64 s[26:27], s[94:95], exec
	s_and_b64 s[94:95], s[36:37], exec
	s_or_b64 s[94:95], s[26:27], s[94:95]
	s_andn2_b64 s[26:27], s[92:93], exec
	s_and_b64 s[92:93], s[34:35], exec
	s_or_b64 s[92:93], s[26:27], s[92:93]
.LBB4_64:                               ;   in Loop: Header=BB4_65 Depth=3
	s_or_b64 exec, exec, s[30:31]
	s_and_b64 s[26:27], exec, s[92:93]
	s_or_b64 s[88:89], s[26:27], s[88:89]
	s_andn2_b64 s[26:27], s[90:91], exec
	s_and_b64 s[90:91], s[94:95], exec
	s_or_b64 s[90:91], s[26:27], s[90:91]
	s_andn2_b64 exec, exec, s[88:89]
	s_cbranch_execz .LBB4_69
.LBB4_65:                               ;   Parent Loop BB4_47 Depth=1
                                        ;     Parent Loop BB4_57 Depth=2
                                        ; =>    This Inner Loop Header: Depth=3
	s_sleep 1
	s_waitcnt vmcnt(0) lgkmcnt(0)
	flat_load_dwordx2 v[26:27], v[20:21] glc
	s_or_b64 s[94:95], s[94:95], exec
	s_or_b64 s[92:93], s[92:93], exec
                                        ; implicit-def: $vgpr0
	s_and_saveexec_b64 s[30:31], vcc
	s_cbranch_execz .LBB4_64
; %bb.66:                               ;   in Loop: Header=BB4_65 Depth=3
	s_cmpk_lt_i32 s50, 0x270f
	s_cselect_b64 s[38:39], -1, 0
	s_cmpk_gt_i32 s50, 0x270e
	s_mov_b64 s[34:35], -1
	s_cbranch_scc0 .LBB4_68
; %bb.67:                               ;   in Loop: Header=BB4_65 Depth=3
	s_trap 2
	ds_read_b64 v[3:4], v0
	s_andn2_b64 s[38:39], s[38:39], exec
	s_mov_b32 s50, 0
	s_mov_b64 s[36:37], 0
	s_waitcnt vmcnt(0) lgkmcnt(0)
	flat_load_dword v0, v[3:4] glc
	s_waitcnt vmcnt(0) lgkmcnt(0)
	buffer_wbinvl1_vol
	v_cmp_eq_u32_e64 s[26:27], 0, v0
	s_and_b64 s[26:27], s[26:27], exec
	s_or_b64 s[38:39], s[38:39], s[26:27]
	s_and_saveexec_b64 s[48:49], s[38:39]
	s_cbranch_execz .LBB4_63
	s_branch .LBB4_62
.LBB4_68:                               ;   in Loop: Header=BB4_65 Depth=3
	s_add_i32 s50, s50, 1
	s_mov_b64 s[36:37], -1
                                        ; implicit-def: $vgpr0
	s_and_saveexec_b64 s[48:49], s[38:39]
	s_cbranch_execz .LBB4_63
	s_branch .LBB4_62
.LBB4_69:                               ;   in Loop: Header=BB4_57 Depth=2
	s_or_b64 exec, exec, s[88:89]
	s_xor_b64 s[26:27], s[90:91], -1
	s_and_saveexec_b64 s[88:89], s[26:27]
	s_xor_b64 s[26:27], exec, s[88:89]
	s_cbranch_execz .LBB4_71
; %bb.70:                               ;   in Loop: Header=BB4_57 Depth=2
	v_or_b32_e32 v59, 64, v59
	s_waitcnt lgkmcnt(0)
	ds_write_b32 v0, v0
	s_trap 2
.LBB4_71:                               ;   in Loop: Header=BB4_57 Depth=2
	s_or_b64 exec, exec, s[26:27]
.LBB4_72:                               ;   in Loop: Header=BB4_57 Depth=2
	s_or_b64 exec, exec, s[78:79]
	v_and_b32_e32 v0, 0x100, v59
	v_cmp_ne_u32_e32 vcc, 0, v0
	v_and_b32_e32 v0, 7, v36
	s_mov_b64 s[26:27], -1
	;;#ASMSTART
	s_wakeup
	;;#ASMEND
                                        ; implicit-def: $vgpr36_vgpr37
	s_and_saveexec_b64 s[78:79], vcc
	s_cbranch_execz .LBB4_76
; %bb.73:                               ;   in Loop: Header=BB4_57 Depth=2
	buffer_load_dword v3, off, s[0:3], s33 offset:60 ; 4-byte Folded Reload
	buffer_load_dword v4, off, s[0:3], s33 offset:64 ; 4-byte Folded Reload
	;; [unrolled: 1-line block ×4, first 2 shown]
	v_ashrrev_i32_e32 v9, 31, v8
                                        ; implicit-def: $vgpr36_vgpr37
	s_waitcnt vmcnt(0)
	v_mad_u64_u32 v[54:55], s[26:27], v0, 24, v[3:4]
	v_lshlrev_b64 v[3:4], 2, v[8:9]
	flat_store_dwordx2 v[54:55], v[3:4] offset:8
	flat_load_dword v3, v[54:55]
	s_waitcnt vmcnt(0) lgkmcnt(0)
	v_cmp_ne_u32_e32 vcc, 1, v3
	v_cmp_eq_u32_e64 s[26:27], 1, v3
	s_and_saveexec_b64 s[88:89], s[26:27]
	s_cbranch_execz .LBB4_75
; %bb.74:                               ;   in Loop: Header=BB4_57 Depth=2
	flat_load_dword v3, v[54:55] offset:4 glc
	s_waitcnt vmcnt(0) lgkmcnt(0)
	v_ashrrev_i32_e32 v4, 31, v3
	v_lshrrev_b64 v[36:37], 2, v[3:4]
.LBB4_75:                               ;   in Loop: Header=BB4_57 Depth=2
	s_or_b64 exec, exec, s[88:89]
	s_orn2_b64 s[26:27], vcc, exec
.LBB4_76:                               ;   in Loop: Header=BB4_57 Depth=2
	s_or_b64 exec, exec, s[78:79]
	s_and_saveexec_b64 s[78:79], s[26:27]
; %bb.77:                               ;   in Loop: Header=BB4_57 Depth=2
	v_mad_i64_i32 v[36:37], s[26:27], v0, v60, 0
; %bb.78:                               ;   in Loop: Header=BB4_57 Depth=2
	s_or_b64 exec, exec, s[78:79]
	v_lshlrev_b64 v[3:4], 2, v[36:37]
	v_add_co_u32_e32 v3, vcc, v29, v3
	v_addc_co_u32_e32 v4, vcc, v30, v4, vcc
	ds_write_b64 v0, v[3:4] offset:784
	v_and_b32_e32 v0, 0x2000, v59
	v_cmp_ne_u32_e32 vcc, 0, v0
	s_and_saveexec_b64 s[26:27], vcc
	s_cbranch_execz .LBB4_80
; %bb.79:                               ;   in Loop: Header=BB4_57 Depth=2
	ds_read_b64 v[3:4], v0 offset:872
	s_waitcnt lgkmcnt(0)
	v_add_co_u32_e32 v3, vcc, 1, v3
	v_addc_co_u32_e32 v4, vcc, 0, v4, vcc
	ds_write_b64 v0, v[3:4] offset:872
.LBB4_80:                               ;   in Loop: Header=BB4_57 Depth=2
	s_or_b64 exec, exec, s[26:27]
	v_mov_b32_e32 v36, v52
	v_mov_b32_e32 v37, v53
.LBB4_81:                               ;   in Loop: Header=BB4_57 Depth=2
	s_or_b64 exec, exec, s[76:77]
	s_and_saveexec_b64 s[26:27], s[10:11]
	s_cbranch_execz .LBB4_100
; %bb.82:                               ;   in Loop: Header=BB4_57 Depth=2
	s_and_saveexec_b64 s[76:77], s[56:57]
	s_xor_b64 s[76:77], exec, s[76:77]
	s_cbranch_execz .LBB4_97
; %bb.83:                               ;   in Loop: Header=BB4_57 Depth=2
	s_and_saveexec_b64 s[78:79], s[16:17]
	s_cbranch_execz .LBB4_96
; %bb.84:                               ;   in Loop: Header=BB4_57 Depth=2
	s_mov_b64 s[90:91], exec
	v_mbcnt_lo_u32_b32 v0, s90, 0
	v_mbcnt_hi_u32_b32 v0, s91, v0
	v_cmp_eq_u32_e32 vcc, 0, v0
	s_waitcnt vmcnt(0) lgkmcnt(0)
	buffer_wbinvl1_vol
	s_and_saveexec_b64 s[88:89], vcc
	s_cbranch_execz .LBB4_86
; %bb.85:                               ;   in Loop: Header=BB4_57 Depth=2
	s_bcnt1_i32_b64 s90, s[90:91]
	v_mov_b32_e32 v3, s90
	v_mov_b32_e32 v4, v2
	ds_add_u64 v0, v[3:4]
	s_trap 2
.LBB4_86:                               ;   in Loop: Header=BB4_57 Depth=2
	s_or_b64 exec, exec, s[88:89]
	s_trap 2
	ds_read_b64 v[3:4], v0
	s_waitcnt lgkmcnt(0)
	v_add_co_u32_e32 v12, vcc, v12, v61
	v_addc_co_u32_e32 v13, vcc, 0, v13, vcc
	v_cmp_lt_u64_e32 vcc, v[3:4], v[12:13]
	s_and_saveexec_b64 s[88:89], vcc
	s_cbranch_execz .LBB4_95
; %bb.87:                               ;   in Loop: Header=BB4_57 Depth=2
	s_mov_b32 s36, 0
	s_mov_b64 s[90:91], 0
                                        ; implicit-def: $sgpr92_sgpr93
                                        ; implicit-def: $sgpr94_sgpr95
	s_branch .LBB4_89
.LBB4_88:                               ;   in Loop: Header=BB4_89 Depth=3
	s_or_b64 exec, exec, s[34:35]
	s_and_b64 vcc, exec, vcc
	s_or_b64 s[90:91], vcc, s[90:91]
	s_andn2_b64 s[92:93], s[92:93], exec
	s_and_b64 vcc, s[94:95], exec
	s_or_b64 s[92:93], s[92:93], vcc
	s_andn2_b64 exec, exec, s[90:91]
	s_cbranch_execz .LBB4_93
.LBB4_89:                               ;   Parent Loop BB4_47 Depth=1
                                        ;     Parent Loop BB4_57 Depth=2
                                        ; =>    This Inner Loop Header: Depth=3
	s_add_i32 s36, s36, 1
	s_cmpk_lg_i32 s36, 0x2710
	s_cselect_b64 s[30:31], -1, 0
	s_and_b64 vcc, exec, s[30:31]
	s_cbranch_vccz .LBB4_91
; %bb.90:                               ;   in Loop: Header=BB4_89 Depth=3
	s_mov_b64 vcc, -1
	s_or_b64 s[94:95], s[94:95], exec
	s_and_saveexec_b64 s[34:35], s[30:31]
	s_cbranch_execz .LBB4_88
	s_branch .LBB4_92
.LBB4_91:                               ;   in Loop: Header=BB4_89 Depth=3
	s_trap 2
	ds_read_b64 v[3:4], v0
	s_andn2_b64 s[30:31], s[30:31], exec
	s_mov_b32 s36, 0
	s_waitcnt lgkmcnt(0)
	flat_load_dword v0, v[3:4] glc
	s_waitcnt vmcnt(0) lgkmcnt(0)
	buffer_wbinvl1_vol
	v_cmp_eq_u32_e32 vcc, 0, v0
	s_and_b64 vcc, vcc, exec
	s_or_b64 s[30:31], s[30:31], vcc
	s_mov_b64 vcc, -1
	s_or_b64 s[94:95], s[94:95], exec
	s_and_saveexec_b64 s[34:35], s[30:31]
	s_cbranch_execz .LBB4_88
.LBB4_92:                               ;   in Loop: Header=BB4_89 Depth=3
	s_sleep 1
	s_trap 2
	ds_read_b64 v[3:4], v0
	s_waitcnt lgkmcnt(0)
	s_andn2_b64 s[94:95], s[94:95], exec
	v_cmp_ge_u64_e32 vcc, v[3:4], v[12:13]
	s_orn2_b64 vcc, vcc, exec
	s_branch .LBB4_88
.LBB4_93:                               ;   in Loop: Header=BB4_57 Depth=2
	s_or_b64 exec, exec, s[90:91]
	s_and_saveexec_b64 s[90:91], s[92:93]
	s_xor_b64 s[90:91], exec, s[90:91]
	s_cbranch_execz .LBB4_95
; %bb.94:                               ;   in Loop: Header=BB4_57 Depth=2
	ds_write_b32 v0, v24
	s_trap 2
.LBB4_95:                               ;   in Loop: Header=BB4_57 Depth=2
	s_or_b64 exec, exec, s[88:89]
	;;#ASMSTART
	s_wakeup
	;;#ASMEND
.LBB4_96:                               ;   in Loop: Header=BB4_57 Depth=2
	s_or_b64 exec, exec, s[78:79]
.LBB4_97:                               ;   in Loop: Header=BB4_57 Depth=2
	s_andn2_saveexec_b64 s[76:77], s[76:77]
	s_cbranch_execz .LBB4_99
; %bb.98:                               ;   in Loop: Header=BB4_57 Depth=2
	s_waitcnt vmcnt(0) lgkmcnt(0)
	buffer_wbinvl1_vol
	s_barrier
.LBB4_99:                               ;   in Loop: Header=BB4_57 Depth=2
	s_or_b64 exec, exec, s[76:77]
.LBB4_100:                              ;   in Loop: Header=BB4_57 Depth=2
	s_or_b64 exec, exec, s[26:27]
	s_trap 2
	ds_read_b32 v0, v0
	v_and_b32_e32 v3, 0x4000, v59
	v_cmp_ne_u32_e32 vcc, 0, v3
	s_xor_b64 s[26:27], s[6:7], -1
	s_and_b64 s[76:77], s[26:27], vcc
	s_and_saveexec_b64 s[26:27], s[76:77]
	s_cbranch_execz .LBB4_119
; %bb.101:                              ;   in Loop: Header=BB4_57 Depth=2
	s_and_saveexec_b64 s[76:77], s[56:57]
	s_xor_b64 s[76:77], exec, s[76:77]
	s_cbranch_execz .LBB4_116
; %bb.102:                              ;   in Loop: Header=BB4_57 Depth=2
	s_and_saveexec_b64 s[78:79], s[16:17]
	s_cbranch_execz .LBB4_115
; %bb.103:                              ;   in Loop: Header=BB4_57 Depth=2
	s_mov_b64 s[90:91], exec
	v_mbcnt_lo_u32_b32 v3, s90, 0
	v_mbcnt_hi_u32_b32 v3, s91, v3
	v_cmp_eq_u32_e32 vcc, 0, v3
	s_waitcnt vmcnt(0) lgkmcnt(0)
	buffer_wbinvl1_vol
	s_and_saveexec_b64 s[88:89], vcc
	s_cbranch_execz .LBB4_105
; %bb.104:                              ;   in Loop: Header=BB4_57 Depth=2
	s_bcnt1_i32_b64 s90, s[90:91]
	v_mov_b32_e32 v3, s90
	v_mov_b32_e32 v4, v2
	ds_add_u64 v0, v[3:4]
	s_trap 2
.LBB4_105:                              ;   in Loop: Header=BB4_57 Depth=2
	s_or_b64 exec, exec, s[88:89]
	s_trap 2
	ds_read_b64 v[3:4], v0
	s_waitcnt lgkmcnt(0)
	v_add_co_u32_e32 v12, vcc, v12, v61
	v_addc_co_u32_e32 v13, vcc, 0, v13, vcc
	v_cmp_lt_u64_e32 vcc, v[3:4], v[12:13]
	s_and_saveexec_b64 s[88:89], vcc
	s_cbranch_execz .LBB4_114
; %bb.106:                              ;   in Loop: Header=BB4_57 Depth=2
	s_mov_b32 s36, 0
	s_mov_b64 s[90:91], 0
                                        ; implicit-def: $sgpr92_sgpr93
                                        ; implicit-def: $sgpr94_sgpr95
	s_branch .LBB4_108
.LBB4_107:                              ;   in Loop: Header=BB4_108 Depth=3
	s_or_b64 exec, exec, s[34:35]
	s_and_b64 vcc, exec, vcc
	s_or_b64 s[90:91], vcc, s[90:91]
	s_andn2_b64 s[92:93], s[92:93], exec
	s_and_b64 vcc, s[94:95], exec
	s_or_b64 s[92:93], s[92:93], vcc
	s_andn2_b64 exec, exec, s[90:91]
	s_cbranch_execz .LBB4_112
.LBB4_108:                              ;   Parent Loop BB4_47 Depth=1
                                        ;     Parent Loop BB4_57 Depth=2
                                        ; =>    This Inner Loop Header: Depth=3
	s_add_i32 s36, s36, 1
	s_cmpk_lg_i32 s36, 0x2710
	s_cselect_b64 s[30:31], -1, 0
	s_and_b64 vcc, exec, s[30:31]
	s_cbranch_vccz .LBB4_110
; %bb.109:                              ;   in Loop: Header=BB4_108 Depth=3
	s_mov_b64 vcc, -1
	s_or_b64 s[94:95], s[94:95], exec
	s_and_saveexec_b64 s[34:35], s[30:31]
	s_cbranch_execz .LBB4_107
	s_branch .LBB4_111
.LBB4_110:                              ;   in Loop: Header=BB4_108 Depth=3
	s_trap 2
	ds_read_b64 v[3:4], v0
	s_andn2_b64 s[30:31], s[30:31], exec
	s_mov_b32 s36, 0
	s_waitcnt lgkmcnt(0)
	flat_load_dword v3, v[3:4] glc
	s_waitcnt vmcnt(0) lgkmcnt(0)
	buffer_wbinvl1_vol
	v_cmp_eq_u32_e32 vcc, 0, v3
	s_and_b64 vcc, vcc, exec
	s_or_b64 s[30:31], s[30:31], vcc
	s_mov_b64 vcc, -1
	s_or_b64 s[94:95], s[94:95], exec
	s_and_saveexec_b64 s[34:35], s[30:31]
	s_cbranch_execz .LBB4_107
.LBB4_111:                              ;   in Loop: Header=BB4_108 Depth=3
	s_sleep 1
	s_trap 2
	ds_read_b64 v[3:4], v0
	s_waitcnt lgkmcnt(0)
	s_andn2_b64 s[94:95], s[94:95], exec
	v_cmp_ge_u64_e32 vcc, v[3:4], v[12:13]
	s_orn2_b64 vcc, vcc, exec
	s_branch .LBB4_107
.LBB4_112:                              ;   in Loop: Header=BB4_57 Depth=2
	s_or_b64 exec, exec, s[90:91]
	s_and_saveexec_b64 s[90:91], s[92:93]
	s_xor_b64 s[90:91], exec, s[90:91]
	s_cbranch_execz .LBB4_114
; %bb.113:                              ;   in Loop: Header=BB4_57 Depth=2
	ds_write_b32 v0, v24
	s_trap 2
.LBB4_114:                              ;   in Loop: Header=BB4_57 Depth=2
	s_or_b64 exec, exec, s[88:89]
	;;#ASMSTART
	s_wakeup
	;;#ASMEND
.LBB4_115:                              ;   in Loop: Header=BB4_57 Depth=2
	s_or_b64 exec, exec, s[78:79]
.LBB4_116:                              ;   in Loop: Header=BB4_57 Depth=2
	s_andn2_saveexec_b64 s[76:77], s[76:77]
	s_cbranch_execz .LBB4_118
; %bb.117:                              ;   in Loop: Header=BB4_57 Depth=2
	s_waitcnt vmcnt(0) lgkmcnt(0)
	buffer_wbinvl1_vol
	s_barrier
.LBB4_118:                              ;   in Loop: Header=BB4_57 Depth=2
	s_or_b64 exec, exec, s[76:77]
.LBB4_119:                              ;   in Loop: Header=BB4_57 Depth=2
	s_or_b64 exec, exec, s[26:27]
	s_trap 2
	s_waitcnt lgkmcnt(0)
	ds_read_b64 v[52:53], v0
	s_waitcnt lgkmcnt(0)
	v_cmp_eq_u64_e32 vcc, 0, v[52:53]
	s_cbranch_vccnz .LBB4_127
; %bb.120:                              ;   in Loop: Header=BB4_57 Depth=2
	s_trap 2
	ds_read_b64 v[54:55], v0
	s_waitcnt lgkmcnt(0)
	v_cmp_eq_u64_e32 vcc, 0, v[54:55]
	s_cbranch_vccnz .LBB4_127
; %bb.121:                              ;   in Loop: Header=BB4_57 Depth=2
	s_mov_b64 s[26:27], -1
	s_and_saveexec_b64 s[76:77], s[18:19]
	s_cbranch_execz .LBB4_123
; %bb.122:                              ;   in Loop: Header=BB4_57 Depth=2
	ds_read_b32 v3, v0 offset:720
	s_waitcnt lgkmcnt(0)
	v_and_b32_e32 v3, 15, v3
	v_cmp_eq_u32_e32 vcc, 0, v3
	s_orn2_b64 s[26:27], vcc, exec
.LBB4_123:                              ;   in Loop: Header=BB4_57 Depth=2
	s_or_b64 exec, exec, s[76:77]
	s_and_saveexec_b64 s[76:77], s[20:21]
	s_cbranch_execz .LBB4_125
; %bb.124:                              ;   in Loop: Header=BB4_57 Depth=2
	ds_read_b32 v3, v0 offset:784
	s_waitcnt lgkmcnt(0)
	v_and_b32_e32 v3, 15, v3
	v_cmp_eq_u32_e32 vcc, 0, v3
	s_and_b64 s[78:79], s[26:27], vcc
	s_andn2_b64 s[26:27], s[26:27], exec
	s_and_b64 s[78:79], s[78:79], exec
	s_or_b64 s[26:27], s[26:27], s[78:79]
.LBB4_125:                              ;   in Loop: Header=BB4_57 Depth=2
	s_or_b64 exec, exec, s[76:77]
	v_cmp_eq_u32_e32 vcc, 0, v0
	s_xor_b64 s[26:27], s[26:27], -1
	v_cndmask_b32_e32 v3, 0, v8, vcc
	v_cndmask_b32_e64 v0, 0, 1, s[26:27]
	v_lshlrev_b32_e32 v9, 2, v3
	s_mov_b64 s[78:79], -1
	v_cmp_ne_u32_e32 vcc, 0, v0
	v_mov_b32_e32 v0, 0
	s_cbranch_vccz .LBB4_133
; %bb.126:                              ;   in Loop: Header=BB4_57 Depth=2
	v_mov_b32_e32 v11, v58
	s_waitcnt vmcnt(0)
	v_mov_b32_e32 v35, v32
	s_and_saveexec_b64 s[26:27], s[78:79]
	s_cbranch_execnz .LBB4_146
	s_branch .LBB4_154
.LBB4_127:                              ;   in Loop: Header=BB4_57 Depth=2
	s_mov_b64 s[26:27], 0
	s_and_saveexec_b64 s[76:77], s[10:11]
	s_cbranch_execnz .LBB4_155
.LBB4_128:                              ;   in Loop: Header=BB4_57 Depth=2
	s_or_b64 exec, exec, s[76:77]
                                        ; implicit-def: $vgpr0
	s_and_saveexec_b64 s[76:77], s[24:25]
	s_xor_b64 s[76:77], exec, s[76:77]
	s_cbranch_execz .LBB4_173
.LBB4_129:                              ;   in Loop: Header=BB4_57 Depth=2
	v_and_b32_e32 v3, 16, v59
	v_cmp_ne_u32_e32 vcc, 0, v3
	v_and_b32_e32 v0, 16, v59
	s_and_b64 s[78:79], vcc, s[26:27]
	s_and_saveexec_b64 s[26:27], s[78:79]
	s_cbranch_execz .LBB4_131
; %bb.130:                              ;   in Loop: Header=BB4_57 Depth=2
	v_mov_b32_e32 v0, 1
	s_waitcnt vmcnt(0) lgkmcnt(0)
	buffer_wbinvl1_vol
.LBB4_131:                              ;   in Loop: Header=BB4_57 Depth=2
	s_or_b64 exec, exec, s[26:27]
	s_andn2_saveexec_b64 s[26:27], s[76:77]
	s_cbranch_execnz .LBB4_174
.LBB4_132:                              ;   in Loop: Header=BB4_57 Depth=2
	s_or_b64 exec, exec, s[26:27]
	v_cmp_ne_u32_e32 vcc, 0, v0
	s_and_saveexec_b64 s[26:27], vcc
	s_cbranch_execz .LBB4_56
	s_branch .LBB4_192
.LBB4_133:                              ;   in Loop: Header=BB4_57 Depth=2
	v_ashrrev_i32_e32 v0, 31, v9
	v_lshrrev_b32_e32 v0, 20, v0
	v_add_u32_e32 v0, v9, v0
	v_ashrrev_i32_e32 v0, 12, v0
	s_waitcnt vmcnt(0)
	v_sub_u32_e32 v38, v0, v32
	v_cmp_lt_i32_e32 vcc, 0, v38
	s_and_saveexec_b64 s[26:27], vcc
	s_cbranch_execz .LBB4_137
; %bb.134:                              ;   in Loop: Header=BB4_57 Depth=2
	v_mov_b32_e32 v40, v54
	v_mov_b32_e32 v42, v52
	s_mov_b64 s[76:77], 0
	v_mov_b32_e32 v41, v55
	v_mov_b32_e32 v43, v53
.LBB4_135:                              ;   Parent Loop BB4_47 Depth=1
                                        ;     Parent Loop BB4_57 Depth=2
                                        ; =>    This Inner Loop Header: Depth=3
	v_add_co_u32_e32 v4, vcc, v1, v42
	v_addc_co_u32_e32 v5, vcc, v49, v43, vcc
	global_load_dwordx4 v[45:48], v[4:5], off glc slc
	global_load_dwordx4 v[31:34], v[4:5], off offset:1024 glc slc
	global_load_dwordx4 v[16:19], v[4:5], off offset:2048 glc slc
	s_nop 0
	global_load_dwordx4 v[4:7], v[4:5], off offset:3072 glc slc
	v_add_co_u32_e32 v22, vcc, v1, v40
	v_addc_co_u32_e32 v23, vcc, v49, v41, vcc
	v_add_co_u32_e32 v42, vcc, v42, v62
	v_addc_co_u32_e32 v43, vcc, 0, v43, vcc
	v_add_co_u32_e32 v40, vcc, v40, v62
	v_sub_u32_e32 v38, v38, v61
	v_addc_co_u32_e32 v41, vcc, 0, v41, vcc
	v_cmp_gt_i32_e32 vcc, 1, v38
	s_or_b64 s[76:77], vcc, s[76:77]
	s_waitcnt vmcnt(0)
	global_store_dwordx4 v[22:23], v[45:48], off glc slc
	global_store_dwordx4 v[22:23], v[31:34], off offset:1024 glc slc
	global_store_dwordx4 v[22:23], v[16:19], off offset:2048 glc slc
	;; [unrolled: 1-line block ×3, first 2 shown]
	s_andn2_b64 exec, exec, s[76:77]
	s_cbranch_execnz .LBB4_135
; %bb.136:                              ;   in Loop: Header=BB4_57 Depth=2
	s_or_b64 exec, exec, s[76:77]
	buffer_load_dword v32, off, s[0:3], s33 offset:104 ; 4-byte Folded Reload
	buffer_load_dword v18, off, s[0:3], s33 offset:80 ; 4-byte Folded Reload
	;; [unrolled: 1-line block ×6, first 2 shown]
	v_ashrrev_i32_e32 v33, 31, v60
	v_mov_b32_e32 v31, 0x90
	v_add_u32_e32 v47, 0xffffff00, v15
.LBB4_137:                              ;   in Loop: Header=BB4_57 Depth=2
	s_or_b64 exec, exec, s[26:27]
	v_lshlrev_b32_e32 v34, 12, v0
	v_cmp_ne_u32_e32 vcc, v9, v34
	s_mov_b64 s[78:79], 0
	v_mov_b32_e32 v0, 0
                                        ; implicit-def: $vgpr11
                                        ; implicit-def: $vgpr35
	s_and_saveexec_b64 s[76:77], vcc
	s_cbranch_execz .LBB4_145
; %bb.138:                              ;   in Loop: Header=BB4_57 Depth=2
	buffer_load_dword v5, off, s[0:3], s33 offset:100 ; 4-byte Folded Reload
	v_lshlrev_b32_e32 v0, 6, v38
	v_sub_u32_e32 v4, v9, v34
	s_waitcnt vmcnt(0)
	v_sub_u32_e32 v0, v5, v0
	v_ashrrev_i32_e32 v5, 31, v0
	v_lshrrev_b32_e32 v5, 26, v5
	v_add_u32_e32 v5, v0, v5
	v_ashrrev_i32_e32 v6, 6, v5
	v_and_b32_e32 v5, 0xffffffc0, v5
	v_sub_u32_e32 v38, v0, v5
	v_ashrrev_i32_e32 v5, 31, v4
	v_lshrrev_b32_e32 v5, 22, v5
	v_add_u32_e32 v5, v4, v5
	v_and_b32_e32 v39, 0xfffffc00, v5
	v_lshlrev_b32_e32 v0, 4, v38
	v_sub_u32_e32 v49, v4, v39
	v_lshl_add_u32 v11, v6, 10, v0
	v_ashrrev_i32_e32 v7, 10, v5
	v_cmp_lt_i32_e32 vcc, 15, v49
	v_sub_u32_e32 v0, v4, v11
	v_addc_co_u32_e64 v4, s[26:27], 0, v7, vcc
	v_sub_u32_e32 v48, v4, v6
	v_cmp_lt_i32_e64 s[26:27], 15, v0
	s_and_saveexec_b64 s[78:79], s[26:27]
	s_cbranch_execz .LBB4_142
; %bb.139:                              ;   in Loop: Header=BB4_57 Depth=2
	v_add_u32_e32 v11, v11, v34
	v_ashrrev_i32_e32 v35, 31, v11
	s_mov_b64 s[88:89], 0
.LBB4_140:                              ;   Parent Loop BB4_47 Depth=1
                                        ;     Parent Loop BB4_57 Depth=2
                                        ; =>    This Inner Loop Header: Depth=3
	v_add_co_u32_e64 v4, s[26:27], v52, v11
	v_addc_co_u32_e64 v5, s[26:27], v53, v35, s[26:27]
	global_load_dwordx4 v[4:7], v[4:5], off glc slc
	v_add_co_u32_e64 v16, s[26:27], v54, v11
	v_addc_co_u32_e64 v17, s[26:27], v55, v35, s[26:27]
	v_add_co_u32_e64 v11, s[26:27], v11, v14
	v_sub_u32_e32 v0, v0, v14
	v_addc_co_u32_e64 v35, s[26:27], 0, v35, s[26:27]
	v_cmp_gt_i32_e64 s[26:27], 16, v0
	v_sub_u32_e32 v48, v48, v61
	s_or_b64 s[88:89], s[26:27], s[88:89]
	s_waitcnt vmcnt(0)
	global_store_dwordx4 v[16:17], v[4:7], off glc slc
	s_andn2_b64 exec, exec, s[88:89]
	s_cbranch_execnz .LBB4_140
; %bb.141:                              ;   in Loop: Header=BB4_57 Depth=2
	s_or_b64 exec, exec, s[88:89]
.LBB4_142:                              ;   in Loop: Header=BB4_57 Depth=2
	s_or_b64 exec, exec, s[78:79]
	v_and_b32_e32 v40, 12, v9
	v_cndmask_b32_e32 v9, v49, v40, vcc
	v_mov_b32_e32 v0, 0
	v_cmp_ne_u32_e64 s[26:27], 0, v9
	s_mov_b64 s[88:89], 0
                                        ; implicit-def: $vgpr11
                                        ; implicit-def: $vgpr35
	s_and_saveexec_b64 s[78:79], s[26:27]
	s_cbranch_execz .LBB4_144
; %bb.143:                              ;   in Loop: Header=BB4_57 Depth=2
	v_sub_u32_e32 v0, v49, v40
	v_cndmask_b32_e32 v0, 0, v0, vcc
	v_cmp_lt_i32_e32 vcc, 0, v48
	v_cndmask_b32_e32 v4, 0, v61, vcc
	v_sub_u32_e32 v4, v4, v48
	v_lshl_add_u32 v11, v4, 6, v38
	v_ashrrev_i32_e32 v4, 31, v11
	v_lshrrev_b32_e32 v4, 26, v4
	v_add_u32_e32 v4, v11, v4
	v_add3_u32 v0, v39, v34, v0
	v_ashrrev_i32_e32 v35, 6, v4
	s_mov_b64 s[88:89], exec
.LBB4_144:                              ;   in Loop: Header=BB4_57 Depth=2
	s_or_b64 exec, exec, s[78:79]
	s_and_b64 s[78:79], s[88:89], exec
	v_ashrrev_i32_e32 v49, 31, v1
.LBB4_145:                              ;   in Loop: Header=BB4_57 Depth=2
	s_or_b64 exec, exec, s[76:77]
	s_and_saveexec_b64 s[26:27], s[78:79]
	s_cbranch_execz .LBB4_154
.LBB4_146:                              ;   in Loop: Header=BB4_57 Depth=2
	v_ashrrev_i32_e32 v4, 31, v9
	v_lshrrev_b32_e32 v4, 22, v4
	v_add_u32_e32 v4, v9, v4
	v_ashrrev_i32_e32 v39, 10, v4
	v_sub_u32_e32 v34, v39, v35
	v_ashrrev_i32_e32 v4, 31, v11
	v_cmp_lt_i32_e32 vcc, 0, v34
	v_lshrrev_b32_e32 v38, 26, v4
	s_and_saveexec_b64 s[76:77], vcc
	s_cbranch_execz .LBB4_150
; %bb.147:                              ;   in Loop: Header=BB4_57 Depth=2
	v_add_u32_e32 v4, v11, v38
	v_and_b32_e32 v4, 0x3fffffc0, v4
	v_sub_u32_e32 v4, v11, v4
	v_lshlrev_b32_e32 v4, 2, v4
	v_lshlrev_b32_e32 v5, 10, v35
	v_add3_u32 v35, v4, v0, v5
	v_mov_b32_e32 v40, v54
	v_mov_b32_e32 v42, v52
	v_ashrrev_i32_e32 v48, 31, v35
	s_mov_b64 s[78:79], 0
	v_mov_b32_e32 v41, v55
	v_mov_b32_e32 v43, v53
.LBB4_148:                              ;   Parent Loop BB4_47 Depth=1
                                        ;     Parent Loop BB4_57 Depth=2
                                        ; =>    This Inner Loop Header: Depth=3
	v_add_co_u32_e32 v4, vcc, v35, v42
	v_addc_co_u32_e32 v5, vcc, v48, v43, vcc
	flat_load_dword v6, v[4:5] glc slc
	flat_load_dword v7, v[4:5] offset:256 glc slc
	flat_load_dword v16, v[4:5] offset:512 glc slc
	;; [unrolled: 1-line block ×3, first 2 shown]
	v_add_co_u32_e32 v4, vcc, v35, v40
	v_addc_co_u32_e32 v5, vcc, v48, v41, vcc
	v_add_co_u32_e32 v42, vcc, v42, v14
	v_addc_co_u32_e32 v43, vcc, 0, v43, vcc
	v_add_co_u32_e32 v40, vcc, v40, v14
	v_sub_u32_e32 v34, v34, v61
	v_addc_co_u32_e32 v41, vcc, 0, v41, vcc
	v_cmp_gt_i32_e32 vcc, 1, v34
	s_or_b64 s[78:79], vcc, s[78:79]
	s_waitcnt vmcnt(0) lgkmcnt(0)
	flat_store_dword v[4:5], v6 glc slc
	flat_store_dword v[4:5], v7 offset:256 glc slc
	flat_store_dword v[4:5], v16 offset:512 glc slc
	;; [unrolled: 1-line block ×3, first 2 shown]
	s_andn2_b64 exec, exec, s[78:79]
	s_cbranch_execnz .LBB4_148
; %bb.149:                              ;   in Loop: Header=BB4_57 Depth=2
	s_or_b64 exec, exec, s[78:79]
.LBB4_150:                              ;   in Loop: Header=BB4_57 Depth=2
	s_or_b64 exec, exec, s[76:77]
	v_lshlrev_b32_e32 v35, 10, v39
	v_cmp_ne_u32_e32 vcc, v9, v35
	s_and_b64 exec, exec, vcc
	s_cbranch_execz .LBB4_154
; %bb.151:                              ;   in Loop: Header=BB4_57 Depth=2
	v_add_u32_e32 v4, v11, v38
	v_and_b32_e32 v4, 0xffffffc0, v4
	v_sub_u32_e32 v4, v11, v4
	v_lshlrev_b32_e32 v5, 6, v34
	v_sub_u32_e32 v4, v4, v5
	v_ashrrev_i32_e32 v5, 31, v4
	v_lshrrev_b32_e32 v5, 26, v5
	v_add_u32_e32 v5, v4, v5
	v_and_b32_e32 v6, 0x3fffffc0, v5
	v_sub_u32_e32 v4, v4, v6
	v_lshlrev_b32_e32 v5, 2, v5
	v_and_b32_e32 v5, 0xffffff00, v5
	v_lshlrev_b32_e32 v4, 2, v4
	v_add3_u32 v11, v5, v4, v35
	v_sub_u32_e32 v9, v9, v11
	v_cmp_lt_i32_e32 vcc, 3, v9
	s_and_b64 exec, exec, vcc
	s_cbranch_execz .LBB4_154
; %bb.152:                              ;   in Loop: Header=BB4_57 Depth=2
	v_add_u32_e32 v0, v11, v0
	v_ashrrev_i32_e32 v11, 31, v0
	s_mov_b64 s[76:77], 0
.LBB4_153:                              ;   Parent Loop BB4_47 Depth=1
                                        ;     Parent Loop BB4_57 Depth=2
                                        ; =>    This Inner Loop Header: Depth=3
	v_add_co_u32_e32 v4, vcc, v52, v0
	v_addc_co_u32_e32 v5, vcc, v53, v11, vcc
	flat_load_dword v6, v[4:5] glc slc
	v_add_co_u32_e32 v4, vcc, v54, v0
	v_addc_co_u32_e32 v5, vcc, v55, v11, vcc
	v_add_co_u32_e32 v0, vcc, v0, v15
	v_sub_u32_e32 v9, v9, v15
	v_addc_co_u32_e32 v11, vcc, 0, v11, vcc
	v_cmp_gt_i32_e32 vcc, 4, v9
	s_or_b64 s[76:77], vcc, s[76:77]
	s_waitcnt vmcnt(0) lgkmcnt(0)
	flat_store_dword v[4:5], v6 glc slc
	s_andn2_b64 exec, exec, s[76:77]
	s_cbranch_execnz .LBB4_153
.LBB4_154:                              ;   in Loop: Header=BB4_57 Depth=2
	s_or_b64 exec, exec, s[26:27]
	v_cmp_lt_i32_e64 s[26:27], 0, v3
	s_and_saveexec_b64 s[76:77], s[10:11]
	s_cbranch_execz .LBB4_128
.LBB4_155:                              ;   in Loop: Header=BB4_57 Depth=2
	s_and_saveexec_b64 s[78:79], s[56:57]
	s_xor_b64 s[78:79], exec, s[78:79]
	s_cbranch_execz .LBB4_170
; %bb.156:                              ;   in Loop: Header=BB4_57 Depth=2
	s_and_saveexec_b64 s[88:89], s[16:17]
	s_cbranch_execz .LBB4_169
; %bb.157:                              ;   in Loop: Header=BB4_57 Depth=2
	s_mov_b64 s[92:93], exec
	v_mbcnt_lo_u32_b32 v0, s92, 0
	v_mbcnt_hi_u32_b32 v0, s93, v0
	v_cmp_eq_u32_e32 vcc, 0, v0
	s_waitcnt vmcnt(0) lgkmcnt(0)
	buffer_wbinvl1_vol
	s_and_saveexec_b64 s[90:91], vcc
	s_cbranch_execz .LBB4_159
; %bb.158:                              ;   in Loop: Header=BB4_57 Depth=2
	s_bcnt1_i32_b64 s92, s[92:93]
	v_mov_b32_e32 v3, s92
	v_mov_b32_e32 v4, v2
	ds_add_u64 v0, v[3:4]
	s_trap 2
.LBB4_159:                              ;   in Loop: Header=BB4_57 Depth=2
	s_or_b64 exec, exec, s[90:91]
	s_trap 2
	ds_read_b64 v[3:4], v0
	s_waitcnt lgkmcnt(0)
	v_add_co_u32_e32 v12, vcc, v12, v61
	v_addc_co_u32_e32 v13, vcc, 0, v13, vcc
	v_cmp_lt_u64_e32 vcc, v[3:4], v[12:13]
	s_and_saveexec_b64 s[90:91], vcc
	s_cbranch_execz .LBB4_168
; %bb.160:                              ;   in Loop: Header=BB4_57 Depth=2
	s_mov_b32 s38, 0
	s_mov_b64 s[92:93], 0
                                        ; implicit-def: $sgpr94_sgpr95
                                        ; implicit-def: $sgpr30_sgpr31
	s_branch .LBB4_162
.LBB4_161:                              ;   in Loop: Header=BB4_162 Depth=3
	s_or_b64 exec, exec, s[36:37]
	s_and_b64 vcc, exec, vcc
	s_or_b64 s[92:93], vcc, s[92:93]
	s_andn2_b64 s[94:95], s[94:95], exec
	s_and_b64 vcc, s[30:31], exec
	s_or_b64 s[94:95], s[94:95], vcc
	s_andn2_b64 exec, exec, s[92:93]
	s_cbranch_execz .LBB4_166
.LBB4_162:                              ;   Parent Loop BB4_47 Depth=1
                                        ;     Parent Loop BB4_57 Depth=2
                                        ; =>    This Inner Loop Header: Depth=3
	s_add_i32 s38, s38, 1
	s_cmpk_lg_i32 s38, 0x2710
	s_cselect_b64 s[34:35], -1, 0
	s_and_b64 vcc, exec, s[34:35]
	s_cbranch_vccz .LBB4_164
; %bb.163:                              ;   in Loop: Header=BB4_162 Depth=3
	s_mov_b64 vcc, -1
	s_or_b64 s[30:31], s[30:31], exec
	s_and_saveexec_b64 s[36:37], s[34:35]
	s_cbranch_execz .LBB4_161
	s_branch .LBB4_165
.LBB4_164:                              ;   in Loop: Header=BB4_162 Depth=3
	s_trap 2
	ds_read_b64 v[3:4], v0
	s_andn2_b64 s[34:35], s[34:35], exec
	s_mov_b32 s38, 0
	s_waitcnt lgkmcnt(0)
	flat_load_dword v0, v[3:4] glc
	s_waitcnt vmcnt(0) lgkmcnt(0)
	buffer_wbinvl1_vol
	v_cmp_eq_u32_e32 vcc, 0, v0
	s_and_b64 vcc, vcc, exec
	s_or_b64 s[34:35], s[34:35], vcc
	s_mov_b64 vcc, -1
	s_or_b64 s[30:31], s[30:31], exec
	s_and_saveexec_b64 s[36:37], s[34:35]
	s_cbranch_execz .LBB4_161
.LBB4_165:                              ;   in Loop: Header=BB4_162 Depth=3
	s_sleep 1
	s_trap 2
	ds_read_b64 v[3:4], v0
	s_waitcnt lgkmcnt(0)
	s_andn2_b64 s[30:31], s[30:31], exec
	v_cmp_ge_u64_e32 vcc, v[3:4], v[12:13]
	s_orn2_b64 vcc, vcc, exec
	s_branch .LBB4_161
.LBB4_166:                              ;   in Loop: Header=BB4_57 Depth=2
	s_or_b64 exec, exec, s[92:93]
	s_and_saveexec_b64 s[92:93], s[94:95]
	s_xor_b64 s[92:93], exec, s[92:93]
	s_cbranch_execz .LBB4_168
; %bb.167:                              ;   in Loop: Header=BB4_57 Depth=2
	ds_write_b32 v0, v24
	s_trap 2
.LBB4_168:                              ;   in Loop: Header=BB4_57 Depth=2
	s_or_b64 exec, exec, s[90:91]
	;;#ASMSTART
	s_wakeup
	;;#ASMEND
.LBB4_169:                              ;   in Loop: Header=BB4_57 Depth=2
	s_or_b64 exec, exec, s[88:89]
.LBB4_170:                              ;   in Loop: Header=BB4_57 Depth=2
	s_andn2_saveexec_b64 s[78:79], s[78:79]
	s_cbranch_execz .LBB4_172
; %bb.171:                              ;   in Loop: Header=BB4_57 Depth=2
	s_waitcnt vmcnt(0) lgkmcnt(0)
	buffer_wbinvl1_vol
	s_barrier
.LBB4_172:                              ;   in Loop: Header=BB4_57 Depth=2
	s_or_b64 exec, exec, s[78:79]
	s_or_b64 exec, exec, s[76:77]
                                        ; implicit-def: $vgpr0
	s_and_saveexec_b64 s[76:77], s[24:25]
	s_xor_b64 s[76:77], exec, s[76:77]
	s_cbranch_execnz .LBB4_129
.LBB4_173:                              ;   in Loop: Header=BB4_57 Depth=2
	s_andn2_saveexec_b64 s[26:27], s[76:77]
	s_cbranch_execz .LBB4_132
.LBB4_174:                              ;   in Loop: Header=BB4_57 Depth=2
	s_and_saveexec_b64 s[76:77], s[56:57]
	s_xor_b64 s[76:77], exec, s[76:77]
	s_cbranch_execz .LBB4_189
; %bb.175:                              ;   in Loop: Header=BB4_57 Depth=2
	s_and_saveexec_b64 s[78:79], s[16:17]
	s_cbranch_execz .LBB4_188
; %bb.176:                              ;   in Loop: Header=BB4_57 Depth=2
	s_mov_b64 s[90:91], exec
	v_mbcnt_lo_u32_b32 v0, s90, 0
	v_mbcnt_hi_u32_b32 v0, s91, v0
	v_cmp_eq_u32_e32 vcc, 0, v0
	;;#ASMSTART
	s_waitcnt lgkmcnt(0) vmcnt(0)
	;;#ASMEND
	s_and_saveexec_b64 s[88:89], vcc
	s_cbranch_execz .LBB4_178
; %bb.177:                              ;   in Loop: Header=BB4_57 Depth=2
	s_bcnt1_i32_b64 s90, s[90:91]
	v_mov_b32_e32 v3, s90
	v_mov_b32_e32 v4, v2
	s_waitcnt lgkmcnt(0)
	ds_add_u64 v0, v[3:4]
	s_trap 2
.LBB4_178:                              ;   in Loop: Header=BB4_57 Depth=2
	s_or_b64 exec, exec, s[88:89]
	s_trap 2
	ds_read_b64 v[3:4], v0
	s_waitcnt lgkmcnt(0)
	v_add_co_u32_e32 v12, vcc, v12, v61
	v_addc_co_u32_e32 v13, vcc, 0, v13, vcc
	v_cmp_lt_u64_e32 vcc, v[3:4], v[12:13]
	s_and_saveexec_b64 s[88:89], vcc
	s_cbranch_execz .LBB4_187
; %bb.179:                              ;   in Loop: Header=BB4_57 Depth=2
	s_mov_b32 s36, 0
	s_mov_b64 s[90:91], 0
                                        ; implicit-def: $sgpr92_sgpr93
                                        ; implicit-def: $sgpr94_sgpr95
	s_branch .LBB4_181
.LBB4_180:                              ;   in Loop: Header=BB4_181 Depth=3
	s_or_b64 exec, exec, s[34:35]
	s_and_b64 vcc, exec, vcc
	s_or_b64 s[90:91], vcc, s[90:91]
	s_andn2_b64 s[92:93], s[92:93], exec
	s_and_b64 vcc, s[94:95], exec
	s_or_b64 s[92:93], s[92:93], vcc
	s_andn2_b64 exec, exec, s[90:91]
	s_cbranch_execz .LBB4_185
.LBB4_181:                              ;   Parent Loop BB4_47 Depth=1
                                        ;     Parent Loop BB4_57 Depth=2
                                        ; =>    This Inner Loop Header: Depth=3
	s_add_i32 s36, s36, 1
	s_cmpk_lg_i32 s36, 0x2710
	s_cselect_b64 s[30:31], -1, 0
	s_and_b64 vcc, exec, s[30:31]
	s_cbranch_vccz .LBB4_183
; %bb.182:                              ;   in Loop: Header=BB4_181 Depth=3
	s_mov_b64 vcc, -1
	s_or_b64 s[94:95], s[94:95], exec
	s_and_saveexec_b64 s[34:35], s[30:31]
	s_cbranch_execz .LBB4_180
	s_branch .LBB4_184
.LBB4_183:                              ;   in Loop: Header=BB4_181 Depth=3
	s_trap 2
	ds_read_b64 v[3:4], v0
	s_andn2_b64 s[30:31], s[30:31], exec
	s_mov_b32 s36, 0
	s_waitcnt vmcnt(0) lgkmcnt(0)
	flat_load_dword v0, v[3:4] glc
	s_waitcnt vmcnt(0) lgkmcnt(0)
	buffer_wbinvl1_vol
	v_cmp_eq_u32_e32 vcc, 0, v0
	s_and_b64 vcc, vcc, exec
	s_or_b64 s[30:31], s[30:31], vcc
	s_mov_b64 vcc, -1
	s_or_b64 s[94:95], s[94:95], exec
	s_and_saveexec_b64 s[34:35], s[30:31]
	s_cbranch_execz .LBB4_180
.LBB4_184:                              ;   in Loop: Header=BB4_181 Depth=3
	s_sleep 1
	s_trap 2
	ds_read_b64 v[3:4], v0
	s_waitcnt lgkmcnt(0)
	s_andn2_b64 s[94:95], s[94:95], exec
	v_cmp_ge_u64_e32 vcc, v[3:4], v[12:13]
	s_orn2_b64 vcc, vcc, exec
	s_branch .LBB4_180
.LBB4_185:                              ;   in Loop: Header=BB4_57 Depth=2
	s_or_b64 exec, exec, s[90:91]
	s_and_saveexec_b64 s[90:91], s[92:93]
	s_xor_b64 s[90:91], exec, s[90:91]
	s_cbranch_execz .LBB4_187
; %bb.186:                              ;   in Loop: Header=BB4_57 Depth=2
	ds_write_b32 v0, v24
	s_trap 2
.LBB4_187:                              ;   in Loop: Header=BB4_57 Depth=2
	s_or_b64 exec, exec, s[88:89]
	;;#ASMSTART
	s_wakeup
	;;#ASMEND
.LBB4_188:                              ;   in Loop: Header=BB4_57 Depth=2
	s_or_b64 exec, exec, s[78:79]
.LBB4_189:                              ;   in Loop: Header=BB4_57 Depth=2
	s_andn2_saveexec_b64 s[76:77], s[76:77]
	s_cbranch_execz .LBB4_191
; %bb.190:                              ;   in Loop: Header=BB4_57 Depth=2
	;;#ASMSTART
	s_waitcnt lgkmcnt(0) vmcnt(0)
	;;#ASMEND
	s_waitcnt vmcnt(0) lgkmcnt(0)
	s_barrier
.LBB4_191:                              ;   in Loop: Header=BB4_57 Depth=2
	s_or_b64 exec, exec, s[76:77]
	v_and_b32_e32 v0, 16, v59
	s_or_b64 exec, exec, s[26:27]
	v_cmp_ne_u32_e32 vcc, 0, v0
	s_and_saveexec_b64 s[26:27], vcc
	s_cbranch_execz .LBB4_56
.LBB4_192:                              ;   in Loop: Header=BB4_57 Depth=2
	s_and_saveexec_b64 s[76:77], s[14:15]
	s_cbranch_execz .LBB4_55
; %bb.193:                              ;   in Loop: Header=BB4_57 Depth=2
	flat_store_dword v[56:57], v24
	s_branch .LBB4_55
.LBB4_194:                              ;   in Loop: Header=BB4_47 Depth=1
	s_or_b64 exec, exec, s[40:41]
.LBB4_195:                              ;   in Loop: Header=BB4_47 Depth=1
	s_or_b64 exec, exec, s[28:29]
	v_cmp_gt_i32_e32 vcc, 2, v0
	s_and_saveexec_b64 s[28:29], vcc
	s_cbranch_execz .LBB4_267
; %bb.196:                              ;   in Loop: Header=BB4_47 Depth=1
	v_cmp_eq_u32_e64 s[42:43], 0, v0
	s_mov_b64 s[40:41], 0
	s_branch .LBB4_199
.LBB4_197:                              ;   in Loop: Header=BB4_199 Depth=2
	s_or_b64 exec, exec, s[42:43]
	v_add_co_u32_e32 v36, vcc, 2, v36
	v_addc_co_u32_e32 v37, vcc, 0, v37, vcc
	flat_store_dwordx2 v[20:21], v[36:37]
.LBB4_198:                              ;   in Loop: Header=BB4_199 Depth=2
	s_or_b64 exec, exec, s[26:27]
	v_add_u32_e32 v10, v8, v10
	s_mov_b64 s[42:43], 0
	s_andn2_b64 exec, exec, s[40:41]
	s_cbranch_execz .LBB4_266
.LBB4_199:                              ;   Parent Loop BB4_47 Depth=1
                                        ; =>  This Loop Header: Depth=2
                                        ;       Child Loop BB4_205 Depth 3
                                        ;       Child Loop BB4_229 Depth 3
	;; [unrolled: 1-line block ×3, first 2 shown]
	v_sub_u32_e32 v0, v44, v10
	v_min_i32_e32 v8, v8, v0
	v_and_b32_e32 v0, 8, v59
	v_cmp_ne_u32_e32 vcc, 0, v0
	s_and_saveexec_b64 s[76:77], vcc
	s_cbranch_execz .LBB4_221
; %bb.200:                              ;   in Loop: Header=BB4_199 Depth=2
	s_waitcnt vmcnt(0) lgkmcnt(0)
	v_add_co_u32_e32 v3, vcc, 8, v26
	v_addc_co_u32_e32 v4, vcc, 0, v27, vcc
	v_add_co_u32_e32 v50, vcc, 2, v36
	v_addc_co_u32_e32 v51, vcc, 0, v37, vcc
	v_cmp_lt_u64_e32 vcc, v[3:4], v[50:51]
	s_and_saveexec_b64 s[78:79], vcc
	s_cbranch_execz .LBB4_212
; %bb.201:                              ;   in Loop: Header=BB4_199 Depth=2
	v_and_b32_e32 v0, 64, v59
	s_mov_b32 s75, 0
	v_cmp_eq_u32_e32 vcc, 0, v0
	s_mov_b64 s[88:89], 0
                                        ; implicit-def: $sgpr90_sgpr91
                                        ; implicit-def: $sgpr92_sgpr93
                                        ; implicit-def: $sgpr94_sgpr95
	s_branch .LBB4_205
.LBB4_202:                              ;   in Loop: Header=BB4_205 Depth=3
	s_waitcnt vmcnt(0) lgkmcnt(0)
	v_add_co_u32_e64 v3, s[26:27], 8, v26
	v_addc_co_u32_e64 v4, s[26:27], 0, v27, s[26:27]
	v_cmp_ge_u64_e64 s[26:27], v[3:4], v[50:51]
	s_or_b64 s[36:37], s[36:37], exec
	s_orn2_b64 s[34:35], s[26:27], exec
.LBB4_203:                              ;   in Loop: Header=BB4_205 Depth=3
	s_or_b64 exec, exec, s[48:49]
	s_andn2_b64 s[26:27], s[94:95], exec
	s_and_b64 s[94:95], s[36:37], exec
	s_or_b64 s[94:95], s[26:27], s[94:95]
	s_andn2_b64 s[26:27], s[92:93], exec
	s_and_b64 s[92:93], s[34:35], exec
	s_or_b64 s[92:93], s[26:27], s[92:93]
.LBB4_204:                              ;   in Loop: Header=BB4_205 Depth=3
	s_or_b64 exec, exec, s[30:31]
	s_and_b64 s[26:27], exec, s[92:93]
	s_or_b64 s[88:89], s[26:27], s[88:89]
	s_andn2_b64 s[26:27], s[90:91], exec
	s_and_b64 s[90:91], s[94:95], exec
	s_or_b64 s[90:91], s[26:27], s[90:91]
	s_andn2_b64 exec, exec, s[88:89]
	s_cbranch_execz .LBB4_209
.LBB4_205:                              ;   Parent Loop BB4_47 Depth=1
                                        ;     Parent Loop BB4_199 Depth=2
                                        ; =>    This Inner Loop Header: Depth=3
	s_sleep 1
	s_waitcnt vmcnt(0) lgkmcnt(0)
	flat_load_dwordx2 v[26:27], v[20:21] glc
	s_or_b64 s[94:95], s[94:95], exec
	s_or_b64 s[92:93], s[92:93], exec
                                        ; implicit-def: $vgpr0
	s_and_saveexec_b64 s[30:31], vcc
	s_cbranch_execz .LBB4_204
; %bb.206:                              ;   in Loop: Header=BB4_205 Depth=3
	s_cmpk_lt_i32 s75, 0x270f
	s_cselect_b64 s[38:39], -1, 0
	s_cmpk_gt_i32 s75, 0x270e
	s_mov_b64 s[34:35], -1
	s_cbranch_scc0 .LBB4_208
; %bb.207:                              ;   in Loop: Header=BB4_205 Depth=3
	s_trap 2
	ds_read_b64 v[3:4], v0
	s_andn2_b64 s[38:39], s[38:39], exec
	s_mov_b32 s75, 0
	s_mov_b64 s[36:37], 0
	s_waitcnt vmcnt(0) lgkmcnt(0)
	flat_load_dword v0, v[3:4] glc
	s_waitcnt vmcnt(0) lgkmcnt(0)
	buffer_wbinvl1_vol
	v_cmp_eq_u32_e64 s[26:27], 0, v0
	s_and_b64 s[26:27], s[26:27], exec
	s_or_b64 s[38:39], s[38:39], s[26:27]
	s_and_saveexec_b64 s[48:49], s[38:39]
	s_cbranch_execz .LBB4_203
	s_branch .LBB4_202
.LBB4_208:                              ;   in Loop: Header=BB4_205 Depth=3
	s_add_i32 s75, s75, 1
	s_mov_b64 s[36:37], -1
                                        ; implicit-def: $vgpr0
	s_and_saveexec_b64 s[48:49], s[38:39]
	s_cbranch_execz .LBB4_203
	s_branch .LBB4_202
.LBB4_209:                              ;   in Loop: Header=BB4_199 Depth=2
	s_or_b64 exec, exec, s[88:89]
	s_xor_b64 s[26:27], s[90:91], -1
	s_and_saveexec_b64 s[88:89], s[26:27]
	s_xor_b64 s[26:27], exec, s[88:89]
	s_cbranch_execz .LBB4_211
; %bb.210:                              ;   in Loop: Header=BB4_199 Depth=2
	v_or_b32_e32 v59, 64, v59
	s_waitcnt lgkmcnt(0)
	ds_write_b32 v0, v0
	s_trap 2
.LBB4_211:                              ;   in Loop: Header=BB4_199 Depth=2
	s_or_b64 exec, exec, s[26:27]
.LBB4_212:                              ;   in Loop: Header=BB4_199 Depth=2
	s_or_b64 exec, exec, s[78:79]
	v_and_b32_e32 v0, 0x100, v59
	v_cmp_ne_u32_e32 vcc, 0, v0
	v_and_b32_e32 v0, 7, v36
	s_mov_b64 s[26:27], -1
	;;#ASMSTART
	s_wakeup
	;;#ASMEND
                                        ; implicit-def: $vgpr36_vgpr37
	s_and_saveexec_b64 s[78:79], vcc
	s_cbranch_execz .LBB4_216
; %bb.213:                              ;   in Loop: Header=BB4_199 Depth=2
	buffer_load_dword v3, off, s[0:3], s33 offset:60 ; 4-byte Folded Reload
	buffer_load_dword v4, off, s[0:3], s33 offset:64 ; 4-byte Folded Reload
	;; [unrolled: 1-line block ×4, first 2 shown]
	v_ashrrev_i32_e32 v9, 31, v8
                                        ; implicit-def: $vgpr36_vgpr37
	s_waitcnt vmcnt(0)
	v_mad_u64_u32 v[52:53], s[26:27], v0, 24, v[3:4]
	v_lshlrev_b64 v[3:4], 2, v[8:9]
	flat_store_dwordx2 v[52:53], v[3:4] offset:8
	flat_load_dword v3, v[52:53]
	s_waitcnt vmcnt(0) lgkmcnt(0)
	v_cmp_ne_u32_e32 vcc, 1, v3
	v_cmp_eq_u32_e64 s[26:27], 1, v3
	s_and_saveexec_b64 s[88:89], s[26:27]
	s_cbranch_execz .LBB4_215
; %bb.214:                              ;   in Loop: Header=BB4_199 Depth=2
	flat_load_dword v3, v[52:53] offset:4 glc
	s_waitcnt vmcnt(0) lgkmcnt(0)
	v_ashrrev_i32_e32 v4, 31, v3
	v_lshrrev_b64 v[36:37], 2, v[3:4]
.LBB4_215:                              ;   in Loop: Header=BB4_199 Depth=2
	s_or_b64 exec, exec, s[88:89]
	s_orn2_b64 s[26:27], vcc, exec
.LBB4_216:                              ;   in Loop: Header=BB4_199 Depth=2
	s_or_b64 exec, exec, s[78:79]
	s_and_saveexec_b64 s[78:79], s[26:27]
; %bb.217:                              ;   in Loop: Header=BB4_199 Depth=2
	v_mad_i64_i32 v[36:37], s[26:27], v0, v60, 0
; %bb.218:                              ;   in Loop: Header=BB4_199 Depth=2
	s_or_b64 exec, exec, s[78:79]
	v_lshlrev_b64 v[3:4], 2, v[36:37]
	v_add_co_u32_e32 v3, vcc, v29, v3
	v_addc_co_u32_e32 v4, vcc, v30, v4, vcc
	ds_write_b64 v0, v[3:4] offset:784
	v_and_b32_e32 v0, 0x2000, v59
	v_cmp_ne_u32_e32 vcc, 0, v0
	s_and_saveexec_b64 s[26:27], vcc
	s_cbranch_execz .LBB4_220
; %bb.219:                              ;   in Loop: Header=BB4_199 Depth=2
	ds_read_b64 v[3:4], v0 offset:872
	s_waitcnt lgkmcnt(0)
	v_add_co_u32_e32 v3, vcc, 1, v3
	v_addc_co_u32_e32 v4, vcc, 0, v4, vcc
	ds_write_b64 v0, v[3:4] offset:872
.LBB4_220:                              ;   in Loop: Header=BB4_199 Depth=2
	s_or_b64 exec, exec, s[26:27]
	v_mov_b32_e32 v36, v50
	v_mov_b32_e32 v37, v51
.LBB4_221:                              ;   in Loop: Header=BB4_199 Depth=2
	s_or_b64 exec, exec, s[76:77]
	s_xor_b64 s[26:27], s[42:43], -1
	s_and_b64 s[26:27], exec, s[26:27]
	s_or_b64 s[40:41], s[26:27], s[40:41]
	s_and_saveexec_b64 s[26:27], s[10:11]
	s_cbranch_execz .LBB4_240
; %bb.222:                              ;   in Loop: Header=BB4_199 Depth=2
	s_and_saveexec_b64 s[42:43], s[56:57]
	s_xor_b64 s[42:43], exec, s[42:43]
	s_cbranch_execz .LBB4_237
; %bb.223:                              ;   in Loop: Header=BB4_199 Depth=2
	s_and_saveexec_b64 s[76:77], s[16:17]
	s_cbranch_execz .LBB4_236
; %bb.224:                              ;   in Loop: Header=BB4_199 Depth=2
	s_mov_b64 s[88:89], exec
	v_mbcnt_lo_u32_b32 v0, s88, 0
	v_mbcnt_hi_u32_b32 v0, s89, v0
	v_cmp_eq_u32_e32 vcc, 0, v0
	s_waitcnt vmcnt(0) lgkmcnt(0)
	buffer_wbinvl1_vol
	s_and_saveexec_b64 s[78:79], vcc
	s_cbranch_execz .LBB4_226
; %bb.225:                              ;   in Loop: Header=BB4_199 Depth=2
	s_bcnt1_i32_b64 s75, s[88:89]
	v_mov_b32_e32 v3, s75
	v_mov_b32_e32 v4, v2
	ds_add_u64 v0, v[3:4]
	s_trap 2
.LBB4_226:                              ;   in Loop: Header=BB4_199 Depth=2
	s_or_b64 exec, exec, s[78:79]
	s_trap 2
	ds_read_b64 v[3:4], v0
	s_waitcnt lgkmcnt(0)
	v_add_co_u32_e32 v12, vcc, v12, v61
	v_addc_co_u32_e32 v13, vcc, 0, v13, vcc
	v_cmp_lt_u64_e32 vcc, v[3:4], v[12:13]
	s_and_saveexec_b64 s[78:79], vcc
	s_cbranch_execz .LBB4_235
; %bb.227:                              ;   in Loop: Header=BB4_199 Depth=2
	s_mov_b32 s75, 0
	s_mov_b64 s[88:89], 0
                                        ; implicit-def: $sgpr90_sgpr91
                                        ; implicit-def: $sgpr92_sgpr93
	s_branch .LBB4_229
.LBB4_228:                              ;   in Loop: Header=BB4_229 Depth=3
	s_or_b64 exec, exec, s[30:31]
	s_and_b64 s[94:95], exec, vcc
	s_or_b64 s[88:89], s[94:95], s[88:89]
	s_andn2_b64 s[90:91], s[90:91], exec
	s_and_b64 s[94:95], s[92:93], exec
	s_or_b64 s[90:91], s[90:91], s[94:95]
	s_andn2_b64 exec, exec, s[88:89]
	s_cbranch_execz .LBB4_233
.LBB4_229:                              ;   Parent Loop BB4_47 Depth=1
                                        ;     Parent Loop BB4_199 Depth=2
                                        ; =>    This Inner Loop Header: Depth=3
	s_add_i32 s75, s75, 1
	s_cmpk_lg_i32 s75, 0x2710
	s_cselect_b64 s[94:95], -1, 0
	s_and_b64 vcc, exec, s[94:95]
	s_cbranch_vccz .LBB4_231
; %bb.230:                              ;   in Loop: Header=BB4_229 Depth=3
	s_mov_b64 vcc, -1
	s_or_b64 s[92:93], s[92:93], exec
	s_and_saveexec_b64 s[30:31], s[94:95]
	s_cbranch_execz .LBB4_228
	s_branch .LBB4_232
.LBB4_231:                              ;   in Loop: Header=BB4_229 Depth=3
	s_trap 2
	ds_read_b64 v[3:4], v0
	s_andn2_b64 s[94:95], s[94:95], exec
	s_mov_b32 s75, 0
	s_waitcnt lgkmcnt(0)
	flat_load_dword v0, v[3:4] glc
	s_waitcnt vmcnt(0) lgkmcnt(0)
	buffer_wbinvl1_vol
	v_cmp_eq_u32_e32 vcc, 0, v0
	s_and_b64 vcc, vcc, exec
	s_or_b64 s[94:95], s[94:95], vcc
	s_mov_b64 vcc, -1
	s_or_b64 s[92:93], s[92:93], exec
	s_and_saveexec_b64 s[30:31], s[94:95]
	s_cbranch_execz .LBB4_228
.LBB4_232:                              ;   in Loop: Header=BB4_229 Depth=3
	s_sleep 1
	s_trap 2
	ds_read_b64 v[3:4], v0
	s_waitcnt lgkmcnt(0)
	s_andn2_b64 s[92:93], s[92:93], exec
	v_cmp_ge_u64_e32 vcc, v[3:4], v[12:13]
	s_orn2_b64 vcc, vcc, exec
	s_branch .LBB4_228
.LBB4_233:                              ;   in Loop: Header=BB4_199 Depth=2
	s_or_b64 exec, exec, s[88:89]
	s_and_saveexec_b64 s[88:89], s[90:91]
	s_xor_b64 s[88:89], exec, s[88:89]
	s_cbranch_execz .LBB4_235
; %bb.234:                              ;   in Loop: Header=BB4_199 Depth=2
	ds_write_b32 v0, v24
	s_trap 2
.LBB4_235:                              ;   in Loop: Header=BB4_199 Depth=2
	s_or_b64 exec, exec, s[78:79]
	;;#ASMSTART
	s_wakeup
	;;#ASMEND
.LBB4_236:                              ;   in Loop: Header=BB4_199 Depth=2
	s_or_b64 exec, exec, s[76:77]
.LBB4_237:                              ;   in Loop: Header=BB4_199 Depth=2
	s_andn2_saveexec_b64 s[42:43], s[42:43]
	s_cbranch_execz .LBB4_239
; %bb.238:                              ;   in Loop: Header=BB4_199 Depth=2
	s_waitcnt vmcnt(0) lgkmcnt(0)
	buffer_wbinvl1_vol
	s_barrier
.LBB4_239:                              ;   in Loop: Header=BB4_199 Depth=2
	s_or_b64 exec, exec, s[42:43]
.LBB4_240:                              ;   in Loop: Header=BB4_199 Depth=2
	s_or_b64 exec, exec, s[26:27]
                                        ; implicit-def: $vgpr0
	s_and_saveexec_b64 s[26:27], s[24:25]
	s_xor_b64 s[26:27], exec, s[26:27]
	s_cbranch_execz .LBB4_245
; %bb.241:                              ;   in Loop: Header=BB4_199 Depth=2
	s_trap 2
	ds_read_b32 v0, v0
	v_cmp_lt_i32_e32 vcc, 0, v8
	v_and_b32_e32 v3, 16, v59
	s_waitcnt lgkmcnt(0)
	v_readfirstlane_b32 s42, v0
	s_cmp_eq_u32 s42, 0
	s_cselect_b64 s[42:43], -1, 0
	s_and_b64 s[42:43], vcc, s[42:43]
	v_cmp_ne_u32_e32 vcc, 0, v3
	v_and_b32_e32 v0, 16, v59
	s_and_b64 s[76:77], vcc, s[42:43]
	s_and_saveexec_b64 s[42:43], s[76:77]
	s_cbranch_execz .LBB4_243
; %bb.242:                              ;   in Loop: Header=BB4_199 Depth=2
	v_mov_b32_e32 v0, 1
	s_waitcnt vmcnt(0)
	buffer_wbinvl1_vol
.LBB4_243:                              ;   in Loop: Header=BB4_199 Depth=2
	s_or_b64 exec, exec, s[42:43]
	s_andn2_saveexec_b64 s[26:27], s[26:27]
	s_cbranch_execnz .LBB4_246
.LBB4_244:                              ;   in Loop: Header=BB4_199 Depth=2
	s_or_b64 exec, exec, s[26:27]
	v_cmp_ne_u32_e32 vcc, 0, v0
	s_and_saveexec_b64 s[26:27], vcc
	s_cbranch_execz .LBB4_198
	s_branch .LBB4_264
.LBB4_245:                              ;   in Loop: Header=BB4_199 Depth=2
	s_andn2_saveexec_b64 s[26:27], s[26:27]
	s_cbranch_execz .LBB4_244
.LBB4_246:                              ;   in Loop: Header=BB4_199 Depth=2
	s_and_saveexec_b64 s[42:43], s[56:57]
	s_xor_b64 s[42:43], exec, s[42:43]
	s_cbranch_execz .LBB4_261
; %bb.247:                              ;   in Loop: Header=BB4_199 Depth=2
	s_and_saveexec_b64 s[76:77], s[16:17]
	s_cbranch_execz .LBB4_260
; %bb.248:                              ;   in Loop: Header=BB4_199 Depth=2
	s_mov_b64 s[88:89], exec
	v_mbcnt_lo_u32_b32 v0, s88, 0
	v_mbcnt_hi_u32_b32 v0, s89, v0
	v_cmp_eq_u32_e32 vcc, 0, v0
	;;#ASMSTART
	s_waitcnt lgkmcnt(0) vmcnt(0)
	;;#ASMEND
	s_and_saveexec_b64 s[78:79], vcc
	s_cbranch_execz .LBB4_250
; %bb.249:                              ;   in Loop: Header=BB4_199 Depth=2
	s_bcnt1_i32_b64 s75, s[88:89]
	v_mov_b32_e32 v3, s75
	v_mov_b32_e32 v4, v2
	s_waitcnt lgkmcnt(0)
	ds_add_u64 v0, v[3:4]
	s_trap 2
.LBB4_250:                              ;   in Loop: Header=BB4_199 Depth=2
	s_or_b64 exec, exec, s[78:79]
	s_trap 2
	ds_read_b64 v[3:4], v0
	s_waitcnt lgkmcnt(0)
	v_add_co_u32_e32 v12, vcc, v12, v61
	v_addc_co_u32_e32 v13, vcc, 0, v13, vcc
	v_cmp_lt_u64_e32 vcc, v[3:4], v[12:13]
	s_and_saveexec_b64 s[78:79], vcc
	s_cbranch_execz .LBB4_259
; %bb.251:                              ;   in Loop: Header=BB4_199 Depth=2
	s_mov_b32 s75, 0
	s_mov_b64 s[88:89], 0
                                        ; implicit-def: $sgpr90_sgpr91
                                        ; implicit-def: $sgpr92_sgpr93
	s_branch .LBB4_253
.LBB4_252:                              ;   in Loop: Header=BB4_253 Depth=3
	s_or_b64 exec, exec, s[30:31]
	s_and_b64 s[94:95], exec, vcc
	s_or_b64 s[88:89], s[94:95], s[88:89]
	s_andn2_b64 s[90:91], s[90:91], exec
	s_and_b64 s[94:95], s[92:93], exec
	s_or_b64 s[90:91], s[90:91], s[94:95]
	s_andn2_b64 exec, exec, s[88:89]
	s_cbranch_execz .LBB4_257
.LBB4_253:                              ;   Parent Loop BB4_47 Depth=1
                                        ;     Parent Loop BB4_199 Depth=2
                                        ; =>    This Inner Loop Header: Depth=3
	s_add_i32 s75, s75, 1
	s_cmpk_lg_i32 s75, 0x2710
	s_cselect_b64 s[94:95], -1, 0
	s_and_b64 vcc, exec, s[94:95]
	s_cbranch_vccz .LBB4_255
; %bb.254:                              ;   in Loop: Header=BB4_253 Depth=3
	s_mov_b64 vcc, -1
	s_or_b64 s[92:93], s[92:93], exec
	s_and_saveexec_b64 s[30:31], s[94:95]
	s_cbranch_execz .LBB4_252
	s_branch .LBB4_256
.LBB4_255:                              ;   in Loop: Header=BB4_253 Depth=3
	s_trap 2
	ds_read_b64 v[3:4], v0
	s_andn2_b64 s[94:95], s[94:95], exec
	s_mov_b32 s75, 0
	s_waitcnt vmcnt(0) lgkmcnt(0)
	flat_load_dword v0, v[3:4] glc
	s_waitcnt vmcnt(0) lgkmcnt(0)
	buffer_wbinvl1_vol
	v_cmp_eq_u32_e32 vcc, 0, v0
	s_and_b64 vcc, vcc, exec
	s_or_b64 s[94:95], s[94:95], vcc
	s_mov_b64 vcc, -1
	s_or_b64 s[92:93], s[92:93], exec
	s_and_saveexec_b64 s[30:31], s[94:95]
	s_cbranch_execz .LBB4_252
.LBB4_256:                              ;   in Loop: Header=BB4_253 Depth=3
	s_sleep 1
	s_trap 2
	ds_read_b64 v[3:4], v0
	s_waitcnt lgkmcnt(0)
	s_andn2_b64 s[92:93], s[92:93], exec
	v_cmp_ge_u64_e32 vcc, v[3:4], v[12:13]
	s_orn2_b64 vcc, vcc, exec
	s_branch .LBB4_252
.LBB4_257:                              ;   in Loop: Header=BB4_199 Depth=2
	s_or_b64 exec, exec, s[88:89]
	s_and_saveexec_b64 s[88:89], s[90:91]
	s_xor_b64 s[88:89], exec, s[88:89]
	s_cbranch_execz .LBB4_259
; %bb.258:                              ;   in Loop: Header=BB4_199 Depth=2
	ds_write_b32 v0, v24
	s_trap 2
.LBB4_259:                              ;   in Loop: Header=BB4_199 Depth=2
	s_or_b64 exec, exec, s[78:79]
	;;#ASMSTART
	s_wakeup
	;;#ASMEND
.LBB4_260:                              ;   in Loop: Header=BB4_199 Depth=2
	s_or_b64 exec, exec, s[76:77]
.LBB4_261:                              ;   in Loop: Header=BB4_199 Depth=2
	s_andn2_saveexec_b64 s[42:43], s[42:43]
	s_cbranch_execz .LBB4_263
; %bb.262:                              ;   in Loop: Header=BB4_199 Depth=2
	;;#ASMSTART
	s_waitcnt lgkmcnt(0) vmcnt(0)
	;;#ASMEND
	s_waitcnt vmcnt(0) lgkmcnt(0)
	s_barrier
.LBB4_263:                              ;   in Loop: Header=BB4_199 Depth=2
	s_or_b64 exec, exec, s[42:43]
	v_and_b32_e32 v0, 16, v59
	s_or_b64 exec, exec, s[26:27]
	v_cmp_ne_u32_e32 vcc, 0, v0
	s_and_saveexec_b64 s[26:27], vcc
	s_cbranch_execz .LBB4_198
.LBB4_264:                              ;   in Loop: Header=BB4_199 Depth=2
	s_and_saveexec_b64 s[42:43], s[14:15]
	s_cbranch_execz .LBB4_197
; %bb.265:                              ;   in Loop: Header=BB4_199 Depth=2
	flat_store_dword v[56:57], v24
	s_branch .LBB4_197
.LBB4_266:                              ;   in Loop: Header=BB4_47 Depth=1
	s_or_b64 exec, exec, s[40:41]
.LBB4_267:                              ;   in Loop: Header=BB4_47 Depth=1
	s_or_b64 exec, exec, s[28:29]
	buffer_load_dword v42, off, s[0:3], s33 offset:60 ; 4-byte Folded Reload
	buffer_load_dword v43, off, s[0:3], s33 offset:64 ; 4-byte Folded Reload
	;; [unrolled: 1-line block ×4, first 2 shown]
	v_cndmask_b32_e64 v0, 0, 1, s[60:61]
	v_cmp_ne_u32_e64 s[26:27], 1, v0
	s_andn2_b64 vcc, exec, s[60:61]
	s_cbranch_vccnz .LBB4_493
; %bb.268:                              ;   in Loop: Header=BB4_47 Depth=1
	s_mov_b32 s75, 2
	s_branch .LBB4_271
.LBB4_269:                              ;   in Loop: Header=BB4_271 Depth=2
	s_or_b64 exec, exec, s[42:43]
.LBB4_270:                              ;   in Loop: Header=BB4_271 Depth=2
	s_or_b64 exec, exec, s[40:41]
	s_add_i32 s75, s75, 1
	s_cmp_eq_u32 s75, s52
	s_cbranch_scc1 .LBB4_492
.LBB4_271:                              ;   Parent Loop BB4_47 Depth=1
                                        ; =>  This Loop Header: Depth=2
                                        ;       Child Loop BB4_274 Depth 3
                                        ;         Child Loop BB4_282 Depth 4
                                        ;         Child Loop BB4_310 Depth 4
	;; [unrolled: 1-line block ×9, first 2 shown]
                                        ;       Child Loop BB4_420 Depth 3
                                        ;         Child Loop BB4_426 Depth 4
                                        ;         Child Loop BB4_454 Depth 4
	;; [unrolled: 1-line block ×3, first 2 shown]
	buffer_load_dword v5, off, s[0:3], s33 offset:116 ; 4-byte Folded Reload
	buffer_load_dword v6, off, s[0:3], s33 offset:120 ; 4-byte Folded Reload
	s_sub_i32 s28, s65, s75
	s_cmp_ge_i32 s28, s52
	s_cselect_b32 s29, s52, 0
	s_sub_i32 s28, s28, s29
	s_ashr_i32 s40, s28, 31
	v_mov_b32_e32 v10, 0
	s_waitcnt vmcnt(0)
	v_mul_lo_u32 v3, v5, s40
	v_mul_lo_u32 v0, v6, s28
	v_mad_u64_u32 v[50:51], s[28:29], v5, s28, 0
	v_add3_u32 v51, v51, v3, v0
	buffer_load_dword v3, off, s[0:3], s33 offset:108 ; 4-byte Folded Reload
	buffer_load_dword v4, off, s[0:3], s33 offset:112 ; 4-byte Folded Reload
	s_waitcnt vmcnt(0)
	v_sub_co_u32_e32 v3, vcc, v3, v50
	v_subb_co_u32_e32 v4, vcc, v4, v51, vcc
	v_cmp_lt_i64_e32 vcc, v[5:6], v[3:4]
	v_cndmask_b32_e32 v0, v3, v5, vcc
	v_max_i32_e32 v46, 0, v0
	v_add_u32_e32 v3, 31, v46
	v_lshrrev_b32_e32 v3, 1, v3
	v_and_b32_e32 v3, 0x3ffffff0, v3
	v_cmp_lt_i32_e32 vcc, 0, v0
	v_max_i32_e32 v8, s68, v3
	s_and_b64 s[28:29], s[72:73], vcc
	v_mov_b32_e32 v0, 0
	s_and_saveexec_b64 s[40:41], s[28:29]
	s_cbranch_execz .LBB4_417
; %bb.272:                              ;   in Loop: Header=BB4_271 Depth=2
	v_lshlrev_b64 v[50:51], 2, v[50:51]
	s_mov_b32 s80, 1
	s_mov_b64 s[76:77], -1
	v_mov_b32_e32 v10, 0
	s_mov_b64 s[42:43], 0
	s_branch .LBB4_274
.LBB4_273:                              ;   in Loop: Header=BB4_274 Depth=3
	s_or_b64 exec, exec, s[28:29]
	v_add_u32_e32 v10, v8, v10
	v_cmp_ge_i32_e32 vcc, v10, v46
	s_xor_b64 s[28:29], s[76:77], -1
	s_or_b64 s[28:29], s[28:29], vcc
	s_and_b64 s[28:29], exec, s[28:29]
	s_or_b64 s[42:43], s[28:29], s[42:43]
	s_mov_b64 s[76:77], 0
	v_mov_b32_e32 v0, s80
	s_mov_b32 s80, 2
	s_andn2_b64 exec, exec, s[42:43]
	s_cbranch_execz .LBB4_416
.LBB4_274:                              ;   Parent Loop BB4_47 Depth=1
                                        ;     Parent Loop BB4_271 Depth=2
                                        ; =>    This Loop Header: Depth=3
                                        ;         Child Loop BB4_282 Depth 4
                                        ;         Child Loop BB4_310 Depth 4
	;; [unrolled: 1-line block ×9, first 2 shown]
	s_and_saveexec_b64 s[28:29], s[4:5]
	s_cbranch_execz .LBB4_276
; %bb.275:                              ;   in Loop: Header=BB4_274 Depth=3
	s_trap 2
	ds_read_b64 v[3:4], v0
	s_waitcnt vmcnt(0)
	v_lshlrev_b64 v[5:6], 2, v[22:23]
	v_ashrrev_i32_e32 v11, 31, v10
	s_waitcnt lgkmcnt(0)
	v_add_co_u32_e32 v0, vcc, v3, v5
	v_addc_co_u32_e32 v3, vcc, v4, v6, vcc
	v_add_co_u32_e32 v0, vcc, v0, v50
	v_addc_co_u32_e32 v5, vcc, v3, v51, vcc
	v_lshlrev_b64 v[3:4], 2, v[10:11]
	v_add_co_u32_e32 v3, vcc, v0, v3
	v_addc_co_u32_e32 v4, vcc, v5, v4, vcc
	ds_write_b64 v0, v[3:4]
	v_mov_b32_e32 v3, v2
	ds_write_b64 v0, v[2:3]
.LBB4_276:                              ;   in Loop: Header=BB4_274 Depth=3
	s_or_b64 exec, exec, s[28:29]
	v_sub_u32_e32 v0, v46, v10
	v_min_i32_e32 v8, v8, v0
	v_and_b32_e32 v0, 12, v59
	v_cmp_ne_u32_e32 vcc, 0, v0
	s_and_saveexec_b64 s[78:79], vcc
	s_cbranch_execz .LBB4_302
; %bb.277:                              ;   in Loop: Header=BB4_274 Depth=3
	v_and_b32_e32 v3, 8, v59
	s_waitcnt vmcnt(0) lgkmcnt(0)
	v_add_co_u32_e32 v4, vcc, v26, v3
	v_addc_co_u32_e32 v5, vcc, 0, v27, vcc
	v_add_co_u32_e32 v52, vcc, 2, v36
	v_addc_co_u32_e32 v53, vcc, 0, v37, vcc
	v_cmp_lt_u64_e32 vcc, v[4:5], v[52:53]
	s_and_saveexec_b64 s[88:89], vcc
	s_cbranch_execz .LBB4_289
; %bb.278:                              ;   in Loop: Header=BB4_274 Depth=3
	v_and_b32_e32 v0, 64, v59
	s_mov_b32 s81, 0
	v_cmp_eq_u32_e32 vcc, 0, v0
	s_mov_b64 s[90:91], 0
                                        ; implicit-def: $sgpr92_sgpr93
                                        ; implicit-def: $sgpr94_sgpr95
                                        ; implicit-def: $sgpr30_sgpr31
	s_branch .LBB4_282
.LBB4_279:                              ;   in Loop: Header=BB4_282 Depth=4
	s_waitcnt vmcnt(0) lgkmcnt(0)
	v_add_co_u32_e64 v4, s[28:29], v26, v3
	v_addc_co_u32_e64 v5, s[28:29], 0, v27, s[28:29]
	v_cmp_ge_u64_e64 s[28:29], v[4:5], v[52:53]
	s_or_b64 s[38:39], s[38:39], exec
	s_orn2_b64 s[36:37], s[28:29], exec
.LBB4_280:                              ;   in Loop: Header=BB4_282 Depth=4
	s_or_b64 exec, exec, s[50:51]
	s_andn2_b64 s[28:29], s[30:31], exec
	s_and_b64 s[30:31], s[38:39], exec
	s_or_b64 s[30:31], s[28:29], s[30:31]
	s_andn2_b64 s[28:29], s[94:95], exec
	s_and_b64 s[94:95], s[36:37], exec
	s_or_b64 s[94:95], s[28:29], s[94:95]
.LBB4_281:                              ;   in Loop: Header=BB4_282 Depth=4
	s_or_b64 exec, exec, s[34:35]
	s_and_b64 s[28:29], exec, s[94:95]
	s_or_b64 s[90:91], s[28:29], s[90:91]
	s_andn2_b64 s[28:29], s[92:93], exec
	s_and_b64 s[92:93], s[30:31], exec
	s_or_b64 s[92:93], s[28:29], s[92:93]
	s_andn2_b64 exec, exec, s[90:91]
	s_cbranch_execz .LBB4_286
.LBB4_282:                              ;   Parent Loop BB4_47 Depth=1
                                        ;     Parent Loop BB4_271 Depth=2
                                        ;       Parent Loop BB4_274 Depth=3
                                        ; =>      This Inner Loop Header: Depth=4
	s_sleep 1
	s_waitcnt vmcnt(0) lgkmcnt(0)
	flat_load_dwordx2 v[26:27], v[20:21] glc
	s_or_b64 s[30:31], s[30:31], exec
	s_or_b64 s[94:95], s[94:95], exec
                                        ; implicit-def: $vgpr0
	s_and_saveexec_b64 s[34:35], vcc
	s_cbranch_execz .LBB4_281
; %bb.283:                              ;   in Loop: Header=BB4_282 Depth=4
	s_cmpk_lt_i32 s81, 0x270f
	s_cselect_b64 s[48:49], -1, 0
	s_cmpk_gt_i32 s81, 0x270e
	s_mov_b64 s[36:37], -1
	s_cbranch_scc0 .LBB4_285
; %bb.284:                              ;   in Loop: Header=BB4_282 Depth=4
	s_trap 2
	ds_read_b64 v[4:5], v0
	s_andn2_b64 s[48:49], s[48:49], exec
	s_mov_b32 s81, 0
	s_mov_b64 s[38:39], 0
	s_waitcnt vmcnt(0) lgkmcnt(0)
	flat_load_dword v0, v[4:5] glc
	s_waitcnt vmcnt(0) lgkmcnt(0)
	buffer_wbinvl1_vol
	v_cmp_eq_u32_e64 s[28:29], 0, v0
	s_and_b64 s[28:29], s[28:29], exec
	s_or_b64 s[48:49], s[48:49], s[28:29]
	s_and_saveexec_b64 s[50:51], s[48:49]
	s_cbranch_execz .LBB4_280
	s_branch .LBB4_279
.LBB4_285:                              ;   in Loop: Header=BB4_282 Depth=4
	s_add_i32 s81, s81, 1
	s_mov_b64 s[38:39], -1
                                        ; implicit-def: $vgpr0
	s_and_saveexec_b64 s[50:51], s[48:49]
	s_cbranch_execz .LBB4_280
	s_branch .LBB4_279
.LBB4_286:                              ;   in Loop: Header=BB4_274 Depth=3
	s_or_b64 exec, exec, s[90:91]
	s_xor_b64 s[28:29], s[92:93], -1
	s_and_saveexec_b64 s[90:91], s[28:29]
	s_xor_b64 s[28:29], exec, s[90:91]
	s_cbranch_execz .LBB4_288
; %bb.287:                              ;   in Loop: Header=BB4_274 Depth=3
	v_or_b32_e32 v59, 64, v59
	s_waitcnt lgkmcnt(0)
	ds_write_b32 v0, v0
	s_trap 2
.LBB4_288:                              ;   in Loop: Header=BB4_274 Depth=3
	s_or_b64 exec, exec, s[28:29]
.LBB4_289:                              ;   in Loop: Header=BB4_274 Depth=3
	s_or_b64 exec, exec, s[88:89]
	v_and_b32_e32 v0, 0x108, v59
	v_cmp_ne_u32_e32 vcc, s54, v0
	;;#ASMSTART
	s_wakeup
	;;#ASMEND
                                        ; implicit-def: $vgpr54_vgpr55
	s_and_saveexec_b64 s[28:29], vcc
	s_xor_b64 s[28:29], exec, s[28:29]
; %bb.290:                              ;   in Loop: Header=BB4_274 Depth=3
	v_and_b32_e32 v54, 7, v36
	v_mov_b32_e32 v55, v2
                                        ; implicit-def: $vgpr36_vgpr37
; %bb.291:                              ;   in Loop: Header=BB4_274 Depth=3
	s_andn2_saveexec_b64 s[28:29], s[28:29]
	s_cbranch_execz .LBB4_293
; %bb.292:                              ;   in Loop: Header=BB4_274 Depth=3
	v_and_b32_e32 v54, 7, v36
	v_mad_u64_u32 v[4:5], s[88:89], v54, 24, v[42:43]
	v_ashrrev_i32_e32 v9, 31, v8
	v_lshlrev_b64 v[6:7], 2, v[8:9]
	v_mov_b32_e32 v55, v2
	flat_store_dwordx2 v[4:5], v[6:7] offset:8
.LBB4_293:                              ;   in Loop: Header=BB4_274 Depth=3
	s_or_b64 exec, exec, s[28:29]
	v_and_b32_e32 v0, 0x100, v59
	v_cmp_ne_u32_e32 vcc, 0, v0
	s_mov_b64 s[28:29], -1
                                        ; implicit-def: $vgpr36_vgpr37
	s_and_saveexec_b64 s[88:89], vcc
	s_cbranch_execz .LBB4_297
; %bb.294:                              ;   in Loop: Header=BB4_274 Depth=3
	v_mad_u64_u32 v[40:41], s[28:29], v54, 24, v[42:43]
                                        ; implicit-def: $vgpr36_vgpr37
	v_mov_b32_e32 v0, v41
	v_mad_u64_u32 v[4:5], s[28:29], v55, 24, v[0:1]
	v_mov_b32_e32 v41, v4
	flat_load_dword v0, v[40:41]
	s_waitcnt vmcnt(0) lgkmcnt(0)
	v_cmp_ne_u32_e32 vcc, 1, v0
	v_cmp_eq_u32_e64 s[28:29], 1, v0
	s_and_saveexec_b64 s[90:91], s[28:29]
	s_cbranch_execz .LBB4_296
; %bb.295:                              ;   in Loop: Header=BB4_274 Depth=3
	flat_load_dword v4, v[40:41] offset:4 glc
	s_waitcnt vmcnt(0) lgkmcnt(0)
	v_ashrrev_i32_e32 v5, 31, v4
	v_lshrrev_b64 v[36:37], 2, v[4:5]
.LBB4_296:                              ;   in Loop: Header=BB4_274 Depth=3
	s_or_b64 exec, exec, s[90:91]
	s_orn2_b64 s[28:29], vcc, exec
.LBB4_297:                              ;   in Loop: Header=BB4_274 Depth=3
	s_or_b64 exec, exec, s[88:89]
	s_and_saveexec_b64 s[88:89], s[28:29]
	s_cbranch_execz .LBB4_299
; %bb.298:                              ;   in Loop: Header=BB4_274 Depth=3
	v_mul_lo_u32 v0, v55, v60
	v_mul_lo_u32 v4, v54, v33
	v_mad_u64_u32 v[36:37], s[28:29], v54, v60, 0
	v_add3_u32 v37, v37, v4, v0
.LBB4_299:                              ;   in Loop: Header=BB4_274 Depth=3
	s_or_b64 exec, exec, s[88:89]
	v_cmp_eq_u32_e32 vcc, 0, v3
	v_lshlrev_b64 v[3:4], 2, v[36:37]
	v_cndmask_b32_e32 v0, v25, v31, vcc
	v_add_co_u32_e32 v3, vcc, v29, v3
	v_addc_co_u32_e32 v4, vcc, v30, v4, vcc
	v_add_u32_e32 v0, v0, v0
	ds_write_b64 v0, v[3:4] offset:584
	v_and_b32_e32 v0, 0x2000, v59
	v_cmp_ne_u32_e32 vcc, 0, v0
	s_and_saveexec_b64 s[28:29], vcc
	s_cbranch_execz .LBB4_301
; %bb.300:                              ;   in Loop: Header=BB4_274 Depth=3
	ds_read_b64 v[3:4], v0 offset:872
	s_waitcnt lgkmcnt(0)
	v_add_co_u32_e32 v3, vcc, 1, v3
	v_addc_co_u32_e32 v4, vcc, 0, v4, vcc
	ds_write_b64 v0, v[3:4] offset:872
.LBB4_301:                              ;   in Loop: Header=BB4_274 Depth=3
	s_or_b64 exec, exec, s[28:29]
	v_mov_b32_e32 v36, v52
	v_mov_b32_e32 v37, v53
.LBB4_302:                              ;   in Loop: Header=BB4_274 Depth=3
	s_or_b64 exec, exec, s[78:79]
	s_and_saveexec_b64 s[28:29], s[10:11]
	s_cbranch_execz .LBB4_321
; %bb.303:                              ;   in Loop: Header=BB4_274 Depth=3
	s_and_saveexec_b64 s[78:79], s[56:57]
	s_xor_b64 s[78:79], exec, s[78:79]
	s_cbranch_execz .LBB4_318
; %bb.304:                              ;   in Loop: Header=BB4_274 Depth=3
	s_and_saveexec_b64 s[88:89], s[16:17]
	s_cbranch_execz .LBB4_317
; %bb.305:                              ;   in Loop: Header=BB4_274 Depth=3
	s_mov_b64 s[92:93], exec
	v_mbcnt_lo_u32_b32 v0, s92, 0
	v_mbcnt_hi_u32_b32 v0, s93, v0
	v_cmp_eq_u32_e32 vcc, 0, v0
	s_waitcnt vmcnt(0) lgkmcnt(0)
	buffer_wbinvl1_vol
	s_and_saveexec_b64 s[90:91], vcc
	s_cbranch_execz .LBB4_307
; %bb.306:                              ;   in Loop: Header=BB4_274 Depth=3
	s_bcnt1_i32_b64 s92, s[92:93]
	v_mov_b32_e32 v3, s92
	v_mov_b32_e32 v4, v2
	ds_add_u64 v0, v[3:4]
	s_trap 2
.LBB4_307:                              ;   in Loop: Header=BB4_274 Depth=3
	s_or_b64 exec, exec, s[90:91]
	s_trap 2
	ds_read_b64 v[3:4], v0
	s_waitcnt lgkmcnt(0)
	v_add_co_u32_e32 v12, vcc, v12, v61
	v_addc_co_u32_e32 v13, vcc, 0, v13, vcc
	v_cmp_lt_u64_e32 vcc, v[3:4], v[12:13]
	s_and_saveexec_b64 s[90:91], vcc
	s_cbranch_execz .LBB4_316
; %bb.308:                              ;   in Loop: Header=BB4_274 Depth=3
	s_mov_b32 s38, 0
	s_mov_b64 s[92:93], 0
                                        ; implicit-def: $sgpr94_sgpr95
                                        ; implicit-def: $sgpr30_sgpr31
	s_branch .LBB4_310
.LBB4_309:                              ;   in Loop: Header=BB4_310 Depth=4
	s_or_b64 exec, exec, s[36:37]
	s_and_b64 vcc, exec, vcc
	s_or_b64 s[92:93], vcc, s[92:93]
	s_andn2_b64 s[94:95], s[94:95], exec
	s_and_b64 vcc, s[30:31], exec
	s_or_b64 s[94:95], s[94:95], vcc
	s_andn2_b64 exec, exec, s[92:93]
	s_cbranch_execz .LBB4_314
.LBB4_310:                              ;   Parent Loop BB4_47 Depth=1
                                        ;     Parent Loop BB4_271 Depth=2
                                        ;       Parent Loop BB4_274 Depth=3
                                        ; =>      This Inner Loop Header: Depth=4
	s_add_i32 s38, s38, 1
	s_cmpk_lg_i32 s38, 0x2710
	s_cselect_b64 s[34:35], -1, 0
	s_and_b64 vcc, exec, s[34:35]
	s_cbranch_vccz .LBB4_312
; %bb.311:                              ;   in Loop: Header=BB4_310 Depth=4
	s_mov_b64 vcc, -1
	s_or_b64 s[30:31], s[30:31], exec
	s_and_saveexec_b64 s[36:37], s[34:35]
	s_cbranch_execz .LBB4_309
	s_branch .LBB4_313
.LBB4_312:                              ;   in Loop: Header=BB4_310 Depth=4
	s_trap 2
	ds_read_b64 v[3:4], v0
	s_andn2_b64 s[34:35], s[34:35], exec
	s_mov_b32 s38, 0
	s_waitcnt lgkmcnt(0)
	flat_load_dword v0, v[3:4] glc
	s_waitcnt vmcnt(0) lgkmcnt(0)
	buffer_wbinvl1_vol
	v_cmp_eq_u32_e32 vcc, 0, v0
	s_and_b64 vcc, vcc, exec
	s_or_b64 s[34:35], s[34:35], vcc
	s_mov_b64 vcc, -1
	s_or_b64 s[30:31], s[30:31], exec
	s_and_saveexec_b64 s[36:37], s[34:35]
	s_cbranch_execz .LBB4_309
.LBB4_313:                              ;   in Loop: Header=BB4_310 Depth=4
	s_sleep 1
	s_trap 2
	ds_read_b64 v[3:4], v0
	s_waitcnt lgkmcnt(0)
	s_andn2_b64 s[30:31], s[30:31], exec
	v_cmp_ge_u64_e32 vcc, v[3:4], v[12:13]
	s_orn2_b64 vcc, vcc, exec
	s_branch .LBB4_309
.LBB4_314:                              ;   in Loop: Header=BB4_274 Depth=3
	s_or_b64 exec, exec, s[92:93]
	s_and_saveexec_b64 s[92:93], s[94:95]
	s_xor_b64 s[92:93], exec, s[92:93]
	s_cbranch_execz .LBB4_316
; %bb.315:                              ;   in Loop: Header=BB4_274 Depth=3
	ds_write_b32 v0, v24
	s_trap 2
.LBB4_316:                              ;   in Loop: Header=BB4_274 Depth=3
	s_or_b64 exec, exec, s[90:91]
	;;#ASMSTART
	s_wakeup
	;;#ASMEND
.LBB4_317:                              ;   in Loop: Header=BB4_274 Depth=3
	s_or_b64 exec, exec, s[88:89]
.LBB4_318:                              ;   in Loop: Header=BB4_274 Depth=3
	s_andn2_saveexec_b64 s[78:79], s[78:79]
	s_cbranch_execz .LBB4_320
; %bb.319:                              ;   in Loop: Header=BB4_274 Depth=3
	s_waitcnt vmcnt(0) lgkmcnt(0)
	buffer_wbinvl1_vol
	s_barrier
.LBB4_320:                              ;   in Loop: Header=BB4_274 Depth=3
	s_or_b64 exec, exec, s[78:79]
.LBB4_321:                              ;   in Loop: Header=BB4_274 Depth=3
	s_or_b64 exec, exec, s[28:29]
	s_trap 2
	ds_read_b32 v0, v0
	v_and_b32_e32 v3, 0x4000, v59
	v_cmp_ne_u32_e32 vcc, 0, v3
	s_xor_b64 s[28:29], s[6:7], -1
	s_and_b64 s[78:79], s[28:29], vcc
	s_and_saveexec_b64 s[28:29], s[78:79]
	s_cbranch_execz .LBB4_340
; %bb.322:                              ;   in Loop: Header=BB4_274 Depth=3
	s_and_saveexec_b64 s[78:79], s[56:57]
	s_xor_b64 s[78:79], exec, s[78:79]
	s_cbranch_execz .LBB4_337
; %bb.323:                              ;   in Loop: Header=BB4_274 Depth=3
	s_and_saveexec_b64 s[88:89], s[16:17]
	s_cbranch_execz .LBB4_336
; %bb.324:                              ;   in Loop: Header=BB4_274 Depth=3
	s_mov_b64 s[92:93], exec
	v_mbcnt_lo_u32_b32 v3, s92, 0
	v_mbcnt_hi_u32_b32 v3, s93, v3
	v_cmp_eq_u32_e32 vcc, 0, v3
	s_waitcnt vmcnt(0) lgkmcnt(0)
	buffer_wbinvl1_vol
	s_and_saveexec_b64 s[90:91], vcc
	s_cbranch_execz .LBB4_326
; %bb.325:                              ;   in Loop: Header=BB4_274 Depth=3
	s_bcnt1_i32_b64 s92, s[92:93]
	v_mov_b32_e32 v3, s92
	v_mov_b32_e32 v4, v2
	ds_add_u64 v0, v[3:4]
	s_trap 2
.LBB4_326:                              ;   in Loop: Header=BB4_274 Depth=3
	s_or_b64 exec, exec, s[90:91]
	s_trap 2
	ds_read_b64 v[3:4], v0
	s_waitcnt lgkmcnt(0)
	v_add_co_u32_e32 v12, vcc, v12, v61
	v_addc_co_u32_e32 v13, vcc, 0, v13, vcc
	v_cmp_lt_u64_e32 vcc, v[3:4], v[12:13]
	s_and_saveexec_b64 s[90:91], vcc
	s_cbranch_execz .LBB4_335
; %bb.327:                              ;   in Loop: Header=BB4_274 Depth=3
	s_mov_b32 s38, 0
	s_mov_b64 s[92:93], 0
                                        ; implicit-def: $sgpr94_sgpr95
                                        ; implicit-def: $sgpr30_sgpr31
	s_branch .LBB4_329
.LBB4_328:                              ;   in Loop: Header=BB4_329 Depth=4
	s_or_b64 exec, exec, s[36:37]
	s_and_b64 vcc, exec, vcc
	s_or_b64 s[92:93], vcc, s[92:93]
	s_andn2_b64 s[94:95], s[94:95], exec
	s_and_b64 vcc, s[30:31], exec
	s_or_b64 s[94:95], s[94:95], vcc
	s_andn2_b64 exec, exec, s[92:93]
	s_cbranch_execz .LBB4_333
.LBB4_329:                              ;   Parent Loop BB4_47 Depth=1
                                        ;     Parent Loop BB4_271 Depth=2
                                        ;       Parent Loop BB4_274 Depth=3
                                        ; =>      This Inner Loop Header: Depth=4
	s_add_i32 s38, s38, 1
	s_cmpk_lg_i32 s38, 0x2710
	s_cselect_b64 s[34:35], -1, 0
	s_and_b64 vcc, exec, s[34:35]
	s_cbranch_vccz .LBB4_331
; %bb.330:                              ;   in Loop: Header=BB4_329 Depth=4
	s_mov_b64 vcc, -1
	s_or_b64 s[30:31], s[30:31], exec
	s_and_saveexec_b64 s[36:37], s[34:35]
	s_cbranch_execz .LBB4_328
	s_branch .LBB4_332
.LBB4_331:                              ;   in Loop: Header=BB4_329 Depth=4
	s_trap 2
	ds_read_b64 v[3:4], v0
	s_andn2_b64 s[34:35], s[34:35], exec
	s_mov_b32 s38, 0
	s_waitcnt lgkmcnt(0)
	flat_load_dword v3, v[3:4] glc
	s_waitcnt vmcnt(0) lgkmcnt(0)
	buffer_wbinvl1_vol
	v_cmp_eq_u32_e32 vcc, 0, v3
	s_and_b64 vcc, vcc, exec
	s_or_b64 s[34:35], s[34:35], vcc
	s_mov_b64 vcc, -1
	s_or_b64 s[30:31], s[30:31], exec
	s_and_saveexec_b64 s[36:37], s[34:35]
	s_cbranch_execz .LBB4_328
.LBB4_332:                              ;   in Loop: Header=BB4_329 Depth=4
	s_sleep 1
	s_trap 2
	ds_read_b64 v[3:4], v0
	s_waitcnt lgkmcnt(0)
	s_andn2_b64 s[30:31], s[30:31], exec
	v_cmp_ge_u64_e32 vcc, v[3:4], v[12:13]
	s_orn2_b64 vcc, vcc, exec
	s_branch .LBB4_328
.LBB4_333:                              ;   in Loop: Header=BB4_274 Depth=3
	s_or_b64 exec, exec, s[92:93]
	s_and_saveexec_b64 s[92:93], s[94:95]
	s_xor_b64 s[92:93], exec, s[92:93]
	s_cbranch_execz .LBB4_335
; %bb.334:                              ;   in Loop: Header=BB4_274 Depth=3
	ds_write_b32 v0, v24
	s_trap 2
.LBB4_335:                              ;   in Loop: Header=BB4_274 Depth=3
	s_or_b64 exec, exec, s[90:91]
	;;#ASMSTART
	s_wakeup
	;;#ASMEND
.LBB4_336:                              ;   in Loop: Header=BB4_274 Depth=3
	s_or_b64 exec, exec, s[88:89]
.LBB4_337:                              ;   in Loop: Header=BB4_274 Depth=3
	s_andn2_saveexec_b64 s[78:79], s[78:79]
	s_cbranch_execz .LBB4_339
; %bb.338:                              ;   in Loop: Header=BB4_274 Depth=3
	s_waitcnt vmcnt(0) lgkmcnt(0)
	buffer_wbinvl1_vol
	s_barrier
.LBB4_339:                              ;   in Loop: Header=BB4_274 Depth=3
	s_or_b64 exec, exec, s[78:79]
.LBB4_340:                              ;   in Loop: Header=BB4_274 Depth=3
	s_or_b64 exec, exec, s[28:29]
	s_trap 2
	s_waitcnt lgkmcnt(0)
	ds_read_b64 v[52:53], v0
	s_waitcnt lgkmcnt(0)
	v_cmp_eq_u64_e32 vcc, 0, v[52:53]
	s_cbranch_vccnz .LBB4_348
; %bb.341:                              ;   in Loop: Header=BB4_274 Depth=3
	s_trap 2
	ds_read_b64 v[54:55], v0
	s_waitcnt lgkmcnt(0)
	v_cmp_eq_u64_e32 vcc, 0, v[54:55]
	s_cbranch_vccnz .LBB4_348
; %bb.342:                              ;   in Loop: Header=BB4_274 Depth=3
	s_mov_b64 s[28:29], -1
	s_and_saveexec_b64 s[78:79], s[22:23]
	s_cbranch_execz .LBB4_344
; %bb.343:                              ;   in Loop: Header=BB4_274 Depth=3
	ds_read_b32 v3, v0 offset:720
	s_waitcnt lgkmcnt(0)
	v_and_b32_e32 v3, 15, v3
	v_cmp_eq_u32_e32 vcc, 0, v3
	s_orn2_b64 s[28:29], vcc, exec
.LBB4_344:                              ;   in Loop: Header=BB4_274 Depth=3
	s_or_b64 exec, exec, s[78:79]
	s_and_saveexec_b64 s[78:79], s[20:21]
	s_cbranch_execz .LBB4_346
; %bb.345:                              ;   in Loop: Header=BB4_274 Depth=3
	ds_read_b32 v3, v0 offset:784
	s_waitcnt lgkmcnt(0)
	v_and_b32_e32 v3, 15, v3
	v_cmp_eq_u32_e32 vcc, 0, v3
	s_and_b64 s[88:89], s[28:29], vcc
	s_andn2_b64 s[28:29], s[28:29], exec
	s_and_b64 s[88:89], s[88:89], exec
	s_or_b64 s[28:29], s[28:29], s[88:89]
.LBB4_346:                              ;   in Loop: Header=BB4_274 Depth=3
	s_or_b64 exec, exec, s[78:79]
	v_cmp_eq_u32_e32 vcc, 0, v0
	s_xor_b64 s[28:29], s[28:29], -1
	v_cndmask_b32_e32 v3, 0, v8, vcc
	v_cndmask_b32_e64 v0, 0, 1, s[28:29]
	v_lshlrev_b32_e32 v9, 2, v3
	s_mov_b64 s[88:89], -1
	v_cmp_ne_u32_e32 vcc, 0, v0
	v_mov_b32_e32 v11, 0
	s_cbranch_vccz .LBB4_353
; %bb.347:                              ;   in Loop: Header=BB4_274 Depth=3
	v_mov_b32_e32 v0, v58
	s_waitcnt vmcnt(0)
	v_mov_b32_e32 v49, v32
	s_and_saveexec_b64 s[28:29], s[88:89]
	s_cbranch_execnz .LBB4_366
	s_branch .LBB4_374
.LBB4_348:                              ;   in Loop: Header=BB4_274 Depth=3
	s_mov_b64 s[28:29], 0
	s_and_saveexec_b64 s[78:79], s[10:11]
	s_cbranch_execnz .LBB4_375
.LBB4_349:                              ;   in Loop: Header=BB4_274 Depth=3
	s_or_b64 exec, exec, s[78:79]
                                        ; implicit-def: $vgpr0
	s_and_saveexec_b64 s[78:79], s[24:25]
	s_xor_b64 s[78:79], exec, s[78:79]
	s_cbranch_execz .LBB4_393
.LBB4_350:                              ;   in Loop: Header=BB4_274 Depth=3
	v_and_b32_e32 v3, 16, v59
	v_cmp_ne_u32_e32 vcc, 0, v3
	v_and_b32_e32 v0, 16, v59
	s_and_b64 s[88:89], vcc, s[28:29]
	s_and_saveexec_b64 s[28:29], s[88:89]
	s_cbranch_execz .LBB4_352
; %bb.351:                              ;   in Loop: Header=BB4_274 Depth=3
	v_mov_b32_e32 v0, 1
	s_waitcnt vmcnt(0) lgkmcnt(0)
	buffer_wbinvl1_vol
.LBB4_352:                              ;   in Loop: Header=BB4_274 Depth=3
	s_or_b64 exec, exec, s[28:29]
	s_andn2_saveexec_b64 s[28:29], s[78:79]
	s_cbranch_execz .LBB4_412
	s_branch .LBB4_394
.LBB4_353:                              ;   in Loop: Header=BB4_274 Depth=3
	v_ashrrev_i32_e32 v0, 31, v9
	v_lshrrev_b32_e32 v0, 21, v0
	v_add_u32_e32 v0, v9, v0
	v_ashrrev_i32_e32 v0, 11, v0
	s_waitcnt vmcnt(0)
	v_sub_u32_e32 v35, v0, v32
	v_cmp_lt_i32_e32 vcc, 0, v35
	s_and_saveexec_b64 s[28:29], vcc
	s_cbranch_execz .LBB4_357
; %bb.354:                              ;   in Loop: Header=BB4_274 Depth=3
	s_trap 2
	buffer_load_dword v6, off, s[0:3], s33 offset:124 ; 4-byte Folded Reload
	buffer_load_dword v7, off, s[0:3], s33 offset:128 ; 4-byte Folded Reload
	ds_read_b64 v[4:5], v0
	s_mov_b64 s[78:79], 0
	s_waitcnt vmcnt(0)
	v_add_co_u32_e32 v40, vcc, v52, v6
	v_addc_co_u32_e32 v41, vcc, v53, v7, vcc
	s_waitcnt lgkmcnt(0)
	v_add_co_u32_e32 v42, vcc, v4, v6
	v_addc_co_u32_e32 v43, vcc, v5, v7, vcc
	v_add_co_u32_e32 v44, vcc, v54, v6
	v_addc_co_u32_e32 v45, vcc, v55, v7, vcc
.LBB4_355:                              ;   Parent Loop BB4_47 Depth=1
                                        ;     Parent Loop BB4_271 Depth=2
                                        ;       Parent Loop BB4_274 Depth=3
                                        ; =>      This Inner Loop Header: Depth=4
	global_load_dwordx4 v[4:7], v[42:43], off glc slc
	global_load_dwordx4 v[16:19], v[40:41], off glc slc
	global_load_dwordx4 v[31:34], v[40:41], off offset:1024 glc slc
	global_load_dwordx4 v[22:25], v[42:43], off offset:1024 glc slc
	v_add_co_u32_e32 v40, vcc, v40, v28
	v_addc_co_u32_e32 v41, vcc, 0, v41, vcc
	v_add_co_u32_e32 v42, vcc, v42, v28
	v_addc_co_u32_e32 v43, vcc, 0, v43, vcc
	v_sub_u32_e32 v35, v35, v61
	v_cmp_gt_i32_e32 vcc, 1, v35
	s_or_b64 s[78:79], vcc, s[78:79]
	s_waitcnt vmcnt(2)
	v_mul_f32_e32 v4, v16, v4
	v_mul_f32_e32 v5, v17, v5
	;; [unrolled: 1-line block ×4, first 2 shown]
	s_waitcnt vmcnt(0)
	v_mul_f32_e32 v16, v31, v22
	v_mul_f32_e32 v17, v32, v23
	v_mul_f32_e32 v18, v33, v24
	v_mul_f32_e32 v19, v34, v25
	global_store_dwordx4 v[44:45], v[4:7], off glc slc
	global_store_dwordx4 v[44:45], v[16:19], off offset:1024 glc slc
	v_add_co_u32_e32 v44, vcc, v44, v28
	v_addc_co_u32_e32 v45, vcc, 0, v45, vcc
	s_andn2_b64 exec, exec, s[78:79]
	s_cbranch_execnz .LBB4_355
; %bb.356:                              ;   in Loop: Header=BB4_274 Depth=3
	s_or_b64 exec, exec, s[78:79]
	buffer_load_dword v42, off, s[0:3], s33 offset:60 ; 4-byte Folded Reload
	buffer_load_dword v43, off, s[0:3], s33 offset:64 ; 4-byte Folded Reload
	;; [unrolled: 1-line block ×9, first 2 shown]
	v_ashrrev_i32_e32 v33, 31, v60
	v_mov_b32_e32 v24, 1
	v_mov_b32_e32 v25, 0xc8
	;; [unrolled: 1-line block ×3, first 2 shown]
.LBB4_357:                              ;   in Loop: Header=BB4_274 Depth=3
	s_or_b64 exec, exec, s[28:29]
	v_lshlrev_b32_e32 v34, 11, v0
	v_cmp_ne_u32_e32 vcc, v9, v34
	s_mov_b64 s[88:89], 0
	v_mov_b32_e32 v11, 0
                                        ; implicit-def: $vgpr0
                                        ; implicit-def: $vgpr49
	s_and_saveexec_b64 s[78:79], vcc
	s_cbranch_execz .LBB4_365
; %bb.358:                              ;   in Loop: Header=BB4_274 Depth=3
	buffer_load_dword v5, off, s[0:3], s33 offset:100 ; 4-byte Folded Reload
	v_lshlrev_b32_e32 v0, 6, v35
	v_sub_u32_e32 v4, v9, v34
	s_waitcnt vmcnt(0)
	v_sub_u32_e32 v0, v5, v0
	v_ashrrev_i32_e32 v5, 31, v0
	v_lshrrev_b32_e32 v5, 26, v5
	v_add_u32_e32 v5, v0, v5
	v_ashrrev_i32_e32 v6, 6, v5
	v_and_b32_e32 v5, 0xffffffc0, v5
	v_sub_u32_e32 v35, v0, v5
	v_ashrrev_i32_e32 v5, 31, v4
	v_lshrrev_b32_e32 v5, 22, v5
	v_add_u32_e32 v5, v4, v5
	v_and_b32_e32 v38, 0xfffffc00, v5
	v_lshlrev_b32_e32 v0, 4, v35
	v_sub_u32_e32 v48, v4, v38
	v_lshl_add_u32 v11, v6, 10, v0
	v_ashrrev_i32_e32 v7, 10, v5
	v_cmp_lt_i32_e32 vcc, 15, v48
	v_sub_u32_e32 v0, v4, v11
	v_addc_co_u32_e64 v4, s[28:29], 0, v7, vcc
	v_sub_u32_e32 v39, v4, v6
	v_cmp_lt_i32_e64 s[28:29], 15, v0
	s_and_saveexec_b64 s[88:89], s[28:29]
	s_cbranch_execz .LBB4_362
; %bb.359:                              ;   in Loop: Header=BB4_274 Depth=3
	s_trap 2
	ds_read_b64 v[4:5], v0
	v_add_u32_e32 v6, v11, v34
	v_ashrrev_i32_e32 v7, 31, v6
	v_add_co_u32_e64 v40, s[28:29], v6, v52
	v_addc_co_u32_e64 v41, s[28:29], v7, v53, s[28:29]
	s_waitcnt lgkmcnt(0)
	v_add_co_u32_e64 v42, s[28:29], v4, v6
	v_addc_co_u32_e64 v43, s[28:29], v5, v7, s[28:29]
	v_add_co_u32_e64 v44, s[28:29], v6, v54
	v_addc_co_u32_e64 v45, s[28:29], v7, v55, s[28:29]
	s_mov_b64 s[90:91], 0
.LBB4_360:                              ;   Parent Loop BB4_47 Depth=1
                                        ;     Parent Loop BB4_271 Depth=2
                                        ;       Parent Loop BB4_274 Depth=3
                                        ; =>      This Inner Loop Header: Depth=4
	global_load_dwordx4 v[4:7], v[40:41], off glc slc
	global_load_dwordx4 v[16:19], v[42:43], off glc slc
	v_add_co_u32_e64 v40, s[28:29], v40, v14
	v_addc_co_u32_e64 v41, s[28:29], 0, v41, s[28:29]
	v_add_co_u32_e64 v42, s[28:29], v42, v14
	v_addc_co_u32_e64 v43, s[28:29], 0, v43, s[28:29]
	v_sub_u32_e32 v0, v0, v14
	v_cmp_gt_i32_e64 s[28:29], 16, v0
	s_or_b64 s[90:91], s[28:29], s[90:91]
	v_sub_u32_e32 v39, v39, v61
	s_waitcnt vmcnt(0)
	v_mul_f32_e32 v4, v4, v16
	v_mul_f32_e32 v5, v5, v17
	;; [unrolled: 1-line block ×4, first 2 shown]
	global_store_dwordx4 v[44:45], v[4:7], off glc slc
	v_add_co_u32_e64 v44, s[28:29], v44, v14
	v_addc_co_u32_e64 v45, s[28:29], 0, v45, s[28:29]
	s_andn2_b64 exec, exec, s[90:91]
	s_cbranch_execnz .LBB4_360
; %bb.361:                              ;   in Loop: Header=BB4_274 Depth=3
	s_or_b64 exec, exec, s[90:91]
	buffer_load_dword v42, off, s[0:3], s33 offset:60 ; 4-byte Folded Reload
	buffer_load_dword v43, off, s[0:3], s33 offset:64 ; 4-byte Folded Reload
	;; [unrolled: 1-line block ×6, first 2 shown]
.LBB4_362:                              ;   in Loop: Header=BB4_274 Depth=3
	s_or_b64 exec, exec, s[88:89]
	v_and_b32_e32 v40, 12, v9
	v_cndmask_b32_e32 v9, v48, v40, vcc
	v_mov_b32_e32 v11, 0
	v_cmp_ne_u32_e64 s[28:29], 0, v9
	s_mov_b64 s[90:91], 0
                                        ; implicit-def: $vgpr0
                                        ; implicit-def: $vgpr49
	s_and_saveexec_b64 s[88:89], s[28:29]
	s_cbranch_execz .LBB4_364
; %bb.363:                              ;   in Loop: Header=BB4_274 Depth=3
	v_sub_u32_e32 v0, v48, v40
	v_cndmask_b32_e32 v0, 0, v0, vcc
	v_cmp_lt_i32_e32 vcc, 0, v39
	v_add3_u32 v11, v38, v34, v0
	v_cndmask_b32_e32 v0, 0, v61, vcc
	v_sub_u32_e32 v0, v0, v39
	v_lshl_add_u32 v0, v0, 6, v35
	v_ashrrev_i32_e32 v4, 31, v0
	v_lshrrev_b32_e32 v4, 26, v4
	v_add_u32_e32 v4, v0, v4
	v_ashrrev_i32_e32 v49, 6, v4
	s_mov_b64 s[90:91], exec
.LBB4_364:                              ;   in Loop: Header=BB4_274 Depth=3
	s_or_b64 exec, exec, s[88:89]
	s_and_b64 s[88:89], s[90:91], exec
.LBB4_365:                              ;   in Loop: Header=BB4_274 Depth=3
	s_or_b64 exec, exec, s[78:79]
	s_and_saveexec_b64 s[28:29], s[88:89]
	s_cbranch_execz .LBB4_374
.LBB4_366:                              ;   in Loop: Header=BB4_274 Depth=3
	v_ashrrev_i32_e32 v4, 31, v9
	v_lshrrev_b32_e32 v4, 22, v4
	v_add_u32_e32 v4, v9, v4
	v_ashrrev_i32_e32 v38, 10, v4
	v_sub_u32_e32 v34, v38, v49
	v_ashrrev_i32_e32 v4, 31, v0
	v_cmp_lt_i32_e32 vcc, 0, v34
	v_lshrrev_b32_e32 v35, 26, v4
	s_and_saveexec_b64 s[78:79], vcc
	s_cbranch_execz .LBB4_370
; %bb.367:                              ;   in Loop: Header=BB4_274 Depth=3
	v_add_u32_e32 v4, v0, v35
	v_and_b32_e32 v4, 0x3fffffc0, v4
	v_sub_u32_e32 v4, v0, v4
	v_lshlrev_b32_e32 v4, 2, v4
	v_lshlrev_b32_e32 v5, 10, v49
	v_add3_u32 v6, v4, v11, v5
	s_trap 2
	ds_read_b64 v[4:5], v0
	v_ashrrev_i32_e32 v7, 31, v6
	v_add_co_u32_e32 v40, vcc, v6, v52
	v_addc_co_u32_e32 v41, vcc, v7, v53, vcc
	s_waitcnt vmcnt(0) lgkmcnt(0)
	v_add_co_u32_e32 v42, vcc, v4, v6
	v_addc_co_u32_e32 v43, vcc, v5, v7, vcc
	v_add_co_u32_e32 v44, vcc, v6, v54
	v_addc_co_u32_e32 v45, vcc, v7, v55, vcc
	s_mov_b64 s[88:89], 0
.LBB4_368:                              ;   Parent Loop BB4_47 Depth=1
                                        ;     Parent Loop BB4_271 Depth=2
                                        ;       Parent Loop BB4_274 Depth=3
                                        ; =>      This Inner Loop Header: Depth=4
	flat_load_dword v4, v[40:41] glc slc
	flat_load_dword v5, v[40:41] offset:256 glc slc
	flat_load_dword v6, v[40:41] offset:512 glc slc
	;; [unrolled: 1-line block ×3, first 2 shown]
	flat_load_dword v16, v[42:43] glc slc
	flat_load_dword v17, v[42:43] offset:256 glc slc
	flat_load_dword v18, v[42:43] offset:512 glc slc
	;; [unrolled: 1-line block ×3, first 2 shown]
	v_add_co_u32_e32 v40, vcc, v40, v14
	v_addc_co_u32_e32 v41, vcc, 0, v41, vcc
	v_add_co_u32_e32 v42, vcc, v42, v14
	v_addc_co_u32_e32 v43, vcc, 0, v43, vcc
	v_sub_u32_e32 v34, v34, v61
	v_cmp_gt_i32_e32 vcc, 1, v34
	s_or_b64 s[88:89], vcc, s[88:89]
	s_waitcnt vmcnt(0) lgkmcnt(0)
	v_mul_f32_e32 v4, v4, v16
	v_mul_f32_e32 v5, v5, v17
	;; [unrolled: 1-line block ×4, first 2 shown]
	flat_store_dword v[44:45], v4 glc slc
	flat_store_dword v[44:45], v5 offset:256 glc slc
	flat_store_dword v[44:45], v6 offset:512 glc slc
	;; [unrolled: 1-line block ×3, first 2 shown]
	v_add_co_u32_e32 v44, vcc, v44, v14
	v_addc_co_u32_e32 v45, vcc, 0, v45, vcc
	s_andn2_b64 exec, exec, s[88:89]
	s_cbranch_execnz .LBB4_368
; %bb.369:                              ;   in Loop: Header=BB4_274 Depth=3
	s_or_b64 exec, exec, s[88:89]
	buffer_load_dword v42, off, s[0:3], s33 offset:60 ; 4-byte Folded Reload
	buffer_load_dword v43, off, s[0:3], s33 offset:64 ; 4-byte Folded Reload
	;; [unrolled: 1-line block ×6, first 2 shown]
.LBB4_370:                              ;   in Loop: Header=BB4_274 Depth=3
	s_or_b64 exec, exec, s[78:79]
	v_lshlrev_b32_e32 v38, 10, v38
	v_cmp_ne_u32_e32 vcc, v9, v38
	s_and_b64 exec, exec, vcc
	s_cbranch_execz .LBB4_374
; %bb.371:                              ;   in Loop: Header=BB4_274 Depth=3
	v_add_u32_e32 v4, v0, v35
	v_and_b32_e32 v4, 0xffffffc0, v4
	v_sub_u32_e32 v0, v0, v4
	v_lshlrev_b32_e32 v4, 6, v34
	v_sub_u32_e32 v0, v0, v4
	v_ashrrev_i32_e32 v4, 31, v0
	v_lshrrev_b32_e32 v4, 26, v4
	v_add_u32_e32 v4, v0, v4
	v_and_b32_e32 v5, 0x3fffffc0, v4
	v_sub_u32_e32 v0, v0, v5
	v_lshlrev_b32_e32 v4, 2, v4
	v_and_b32_e32 v4, 0xffffff00, v4
	v_lshlrev_b32_e32 v0, 2, v0
	v_add3_u32 v34, v4, v0, v38
	v_sub_u32_e32 v0, v9, v34
	v_cmp_lt_i32_e32 vcc, 3, v0
	s_and_b64 exec, exec, vcc
	s_cbranch_execz .LBB4_374
; %bb.372:                              ;   in Loop: Header=BB4_274 Depth=3
	s_trap 2
	ds_read_b64 v[4:5], v0
	v_add_u32_e32 v6, v34, v11
	v_ashrrev_i32_e32 v7, 31, v6
	v_add_co_u32_e32 v52, vcc, v6, v52
	v_addc_co_u32_e32 v53, vcc, v7, v53, vcc
	s_waitcnt lgkmcnt(0)
	v_add_co_u32_e32 v40, vcc, v4, v6
	v_addc_co_u32_e32 v41, vcc, v5, v7, vcc
	v_add_co_u32_e32 v54, vcc, v6, v54
	v_addc_co_u32_e32 v55, vcc, v7, v55, vcc
	s_mov_b64 s[78:79], 0
.LBB4_373:                              ;   Parent Loop BB4_47 Depth=1
                                        ;     Parent Loop BB4_271 Depth=2
                                        ;       Parent Loop BB4_274 Depth=3
                                        ; =>      This Inner Loop Header: Depth=4
	flat_load_dword v4, v[52:53] glc slc
	flat_load_dword v5, v[40:41] glc slc
	v_add_co_u32_e32 v52, vcc, v52, v15
	v_addc_co_u32_e32 v53, vcc, 0, v53, vcc
	v_add_co_u32_e32 v40, vcc, v40, v15
	v_addc_co_u32_e32 v41, vcc, 0, v41, vcc
	v_sub_u32_e32 v0, v0, v15
	v_cmp_gt_i32_e32 vcc, 4, v0
	s_or_b64 s[78:79], vcc, s[78:79]
	s_waitcnt vmcnt(0) lgkmcnt(0)
	v_mul_f32_e32 v4, v4, v5
	flat_store_dword v[54:55], v4 glc slc
	v_add_co_u32_e32 v54, vcc, v54, v15
	v_addc_co_u32_e32 v55, vcc, 0, v55, vcc
	s_andn2_b64 exec, exec, s[78:79]
	s_cbranch_execnz .LBB4_373
.LBB4_374:                              ;   in Loop: Header=BB4_274 Depth=3
	s_or_b64 exec, exec, s[28:29]
	v_cmp_lt_i32_e64 s[28:29], 0, v3
	v_ashrrev_i32_e32 v49, 31, v1
	s_and_saveexec_b64 s[78:79], s[10:11]
	s_cbranch_execz .LBB4_349
.LBB4_375:                              ;   in Loop: Header=BB4_274 Depth=3
	s_and_saveexec_b64 s[88:89], s[56:57]
	s_xor_b64 s[88:89], exec, s[88:89]
	s_cbranch_execz .LBB4_390
; %bb.376:                              ;   in Loop: Header=BB4_274 Depth=3
	s_and_saveexec_b64 s[90:91], s[16:17]
	s_cbranch_execz .LBB4_389
; %bb.377:                              ;   in Loop: Header=BB4_274 Depth=3
	s_mov_b64 s[94:95], exec
	v_mbcnt_lo_u32_b32 v0, s94, 0
	v_mbcnt_hi_u32_b32 v0, s95, v0
	v_cmp_eq_u32_e32 vcc, 0, v0
	s_waitcnt vmcnt(0) lgkmcnt(0)
	buffer_wbinvl1_vol
	s_and_saveexec_b64 s[92:93], vcc
	s_cbranch_execz .LBB4_379
; %bb.378:                              ;   in Loop: Header=BB4_274 Depth=3
	s_bcnt1_i32_b64 s94, s[94:95]
	v_mov_b32_e32 v3, s94
	v_mov_b32_e32 v4, v2
	ds_add_u64 v0, v[3:4]
	s_trap 2
.LBB4_379:                              ;   in Loop: Header=BB4_274 Depth=3
	s_or_b64 exec, exec, s[92:93]
	s_trap 2
	ds_read_b64 v[3:4], v0
	s_waitcnt lgkmcnt(0)
	v_add_co_u32_e32 v12, vcc, v12, v61
	v_addc_co_u32_e32 v13, vcc, 0, v13, vcc
	v_cmp_lt_u64_e32 vcc, v[3:4], v[12:13]
	s_and_saveexec_b64 s[92:93], vcc
	s_cbranch_execz .LBB4_388
; %bb.380:                              ;   in Loop: Header=BB4_274 Depth=3
	s_mov_b32 s48, 0
	s_mov_b64 s[94:95], 0
                                        ; implicit-def: $sgpr30_sgpr31
                                        ; implicit-def: $sgpr34_sgpr35
	s_branch .LBB4_382
.LBB4_381:                              ;   in Loop: Header=BB4_382 Depth=4
	s_or_b64 exec, exec, s[38:39]
	s_and_b64 vcc, exec, vcc
	s_or_b64 s[94:95], vcc, s[94:95]
	s_andn2_b64 vcc, s[30:31], exec
	s_and_b64 s[30:31], s[34:35], exec
	s_or_b64 s[30:31], vcc, s[30:31]
	s_andn2_b64 exec, exec, s[94:95]
	s_cbranch_execz .LBB4_386
.LBB4_382:                              ;   Parent Loop BB4_47 Depth=1
                                        ;     Parent Loop BB4_271 Depth=2
                                        ;       Parent Loop BB4_274 Depth=3
                                        ; =>      This Inner Loop Header: Depth=4
	s_add_i32 s48, s48, 1
	s_cmpk_lg_i32 s48, 0x2710
	s_cselect_b64 s[36:37], -1, 0
	s_and_b64 vcc, exec, s[36:37]
	s_cbranch_vccz .LBB4_384
; %bb.383:                              ;   in Loop: Header=BB4_382 Depth=4
	s_mov_b64 vcc, -1
	s_or_b64 s[34:35], s[34:35], exec
	s_and_saveexec_b64 s[38:39], s[36:37]
	s_cbranch_execz .LBB4_381
	s_branch .LBB4_385
.LBB4_384:                              ;   in Loop: Header=BB4_382 Depth=4
	s_trap 2
	ds_read_b64 v[3:4], v0
	s_andn2_b64 s[36:37], s[36:37], exec
	s_mov_b32 s48, 0
	s_waitcnt lgkmcnt(0)
	flat_load_dword v0, v[3:4] glc
	s_waitcnt vmcnt(0) lgkmcnt(0)
	buffer_wbinvl1_vol
	v_cmp_eq_u32_e32 vcc, 0, v0
	s_and_b64 vcc, vcc, exec
	s_or_b64 s[36:37], s[36:37], vcc
	s_mov_b64 vcc, -1
	s_or_b64 s[34:35], s[34:35], exec
	s_and_saveexec_b64 s[38:39], s[36:37]
	s_cbranch_execz .LBB4_381
.LBB4_385:                              ;   in Loop: Header=BB4_382 Depth=4
	s_sleep 1
	s_trap 2
	ds_read_b64 v[3:4], v0
	s_waitcnt lgkmcnt(0)
	s_andn2_b64 s[34:35], s[34:35], exec
	v_cmp_ge_u64_e32 vcc, v[3:4], v[12:13]
	s_orn2_b64 vcc, vcc, exec
	s_branch .LBB4_381
.LBB4_386:                              ;   in Loop: Header=BB4_274 Depth=3
	s_or_b64 exec, exec, s[94:95]
	s_and_saveexec_b64 s[94:95], s[30:31]
	s_xor_b64 s[94:95], exec, s[94:95]
	s_cbranch_execz .LBB4_388
; %bb.387:                              ;   in Loop: Header=BB4_274 Depth=3
	ds_write_b32 v0, v24
	s_trap 2
.LBB4_388:                              ;   in Loop: Header=BB4_274 Depth=3
	s_or_b64 exec, exec, s[92:93]
	;;#ASMSTART
	s_wakeup
	;;#ASMEND
.LBB4_389:                              ;   in Loop: Header=BB4_274 Depth=3
	s_or_b64 exec, exec, s[90:91]
.LBB4_390:                              ;   in Loop: Header=BB4_274 Depth=3
	s_andn2_saveexec_b64 s[88:89], s[88:89]
	s_cbranch_execz .LBB4_392
; %bb.391:                              ;   in Loop: Header=BB4_274 Depth=3
	s_waitcnt vmcnt(0) lgkmcnt(0)
	buffer_wbinvl1_vol
	s_barrier
.LBB4_392:                              ;   in Loop: Header=BB4_274 Depth=3
	s_or_b64 exec, exec, s[88:89]
	s_or_b64 exec, exec, s[78:79]
                                        ; implicit-def: $vgpr0
	s_and_saveexec_b64 s[78:79], s[24:25]
	s_xor_b64 s[78:79], exec, s[78:79]
	s_cbranch_execnz .LBB4_350
.LBB4_393:                              ;   in Loop: Header=BB4_274 Depth=3
	s_andn2_saveexec_b64 s[28:29], s[78:79]
	s_cbranch_execz .LBB4_412
.LBB4_394:                              ;   in Loop: Header=BB4_274 Depth=3
	s_and_saveexec_b64 s[78:79], s[56:57]
	s_xor_b64 s[78:79], exec, s[78:79]
	s_cbranch_execz .LBB4_409
; %bb.395:                              ;   in Loop: Header=BB4_274 Depth=3
	s_and_saveexec_b64 s[88:89], s[16:17]
	s_cbranch_execz .LBB4_408
; %bb.396:                              ;   in Loop: Header=BB4_274 Depth=3
	s_mov_b64 s[92:93], exec
	v_mbcnt_lo_u32_b32 v0, s92, 0
	v_mbcnt_hi_u32_b32 v0, s93, v0
	v_cmp_eq_u32_e32 vcc, 0, v0
	;;#ASMSTART
	s_waitcnt lgkmcnt(0) vmcnt(0)
	;;#ASMEND
	s_and_saveexec_b64 s[90:91], vcc
	s_cbranch_execz .LBB4_398
; %bb.397:                              ;   in Loop: Header=BB4_274 Depth=3
	s_bcnt1_i32_b64 s92, s[92:93]
	v_mov_b32_e32 v3, s92
	v_mov_b32_e32 v4, v2
	s_waitcnt lgkmcnt(0)
	ds_add_u64 v0, v[3:4]
	s_trap 2
.LBB4_398:                              ;   in Loop: Header=BB4_274 Depth=3
	s_or_b64 exec, exec, s[90:91]
	s_trap 2
	ds_read_b64 v[3:4], v0
	s_waitcnt lgkmcnt(0)
	v_add_co_u32_e32 v12, vcc, v12, v61
	v_addc_co_u32_e32 v13, vcc, 0, v13, vcc
	v_cmp_lt_u64_e32 vcc, v[3:4], v[12:13]
	s_and_saveexec_b64 s[90:91], vcc
	s_cbranch_execz .LBB4_407
; %bb.399:                              ;   in Loop: Header=BB4_274 Depth=3
	s_mov_b32 s38, 0
	s_mov_b64 s[92:93], 0
                                        ; implicit-def: $sgpr94_sgpr95
                                        ; implicit-def: $sgpr30_sgpr31
	s_branch .LBB4_401
.LBB4_400:                              ;   in Loop: Header=BB4_401 Depth=4
	s_or_b64 exec, exec, s[36:37]
	s_and_b64 vcc, exec, vcc
	s_or_b64 s[92:93], vcc, s[92:93]
	s_andn2_b64 s[94:95], s[94:95], exec
	s_and_b64 vcc, s[30:31], exec
	s_or_b64 s[94:95], s[94:95], vcc
	s_andn2_b64 exec, exec, s[92:93]
	s_cbranch_execz .LBB4_405
.LBB4_401:                              ;   Parent Loop BB4_47 Depth=1
                                        ;     Parent Loop BB4_271 Depth=2
                                        ;       Parent Loop BB4_274 Depth=3
                                        ; =>      This Inner Loop Header: Depth=4
	s_add_i32 s38, s38, 1
	s_cmpk_lg_i32 s38, 0x2710
	s_cselect_b64 s[34:35], -1, 0
	s_and_b64 vcc, exec, s[34:35]
	s_cbranch_vccz .LBB4_403
; %bb.402:                              ;   in Loop: Header=BB4_401 Depth=4
	s_mov_b64 vcc, -1
	s_or_b64 s[30:31], s[30:31], exec
	s_and_saveexec_b64 s[36:37], s[34:35]
	s_cbranch_execz .LBB4_400
	s_branch .LBB4_404
.LBB4_403:                              ;   in Loop: Header=BB4_401 Depth=4
	s_trap 2
	ds_read_b64 v[3:4], v0
	s_andn2_b64 s[34:35], s[34:35], exec
	s_mov_b32 s38, 0
	s_waitcnt vmcnt(0) lgkmcnt(0)
	flat_load_dword v0, v[3:4] glc
	s_waitcnt vmcnt(0) lgkmcnt(0)
	buffer_wbinvl1_vol
	v_cmp_eq_u32_e32 vcc, 0, v0
	s_and_b64 vcc, vcc, exec
	s_or_b64 s[34:35], s[34:35], vcc
	s_mov_b64 vcc, -1
	s_or_b64 s[30:31], s[30:31], exec
	s_and_saveexec_b64 s[36:37], s[34:35]
	s_cbranch_execz .LBB4_400
.LBB4_404:                              ;   in Loop: Header=BB4_401 Depth=4
	s_sleep 1
	s_trap 2
	ds_read_b64 v[3:4], v0
	s_waitcnt lgkmcnt(0)
	s_andn2_b64 s[30:31], s[30:31], exec
	v_cmp_ge_u64_e32 vcc, v[3:4], v[12:13]
	s_orn2_b64 vcc, vcc, exec
	s_branch .LBB4_400
.LBB4_405:                              ;   in Loop: Header=BB4_274 Depth=3
	s_or_b64 exec, exec, s[92:93]
	s_and_saveexec_b64 s[92:93], s[94:95]
	s_xor_b64 s[92:93], exec, s[92:93]
	s_cbranch_execz .LBB4_407
; %bb.406:                              ;   in Loop: Header=BB4_274 Depth=3
	ds_write_b32 v0, v24
	s_trap 2
.LBB4_407:                              ;   in Loop: Header=BB4_274 Depth=3
	s_or_b64 exec, exec, s[90:91]
	;;#ASMSTART
	s_wakeup
	;;#ASMEND
.LBB4_408:                              ;   in Loop: Header=BB4_274 Depth=3
	s_or_b64 exec, exec, s[88:89]
.LBB4_409:                              ;   in Loop: Header=BB4_274 Depth=3
	s_andn2_saveexec_b64 s[78:79], s[78:79]
	s_cbranch_execz .LBB4_411
; %bb.410:                              ;   in Loop: Header=BB4_274 Depth=3
	;;#ASMSTART
	s_waitcnt lgkmcnt(0) vmcnt(0)
	;;#ASMEND
	s_waitcnt vmcnt(0) lgkmcnt(0)
	s_barrier
.LBB4_411:                              ;   in Loop: Header=BB4_274 Depth=3
	s_or_b64 exec, exec, s[78:79]
	v_and_b32_e32 v0, 16, v59
.LBB4_412:                              ;   in Loop: Header=BB4_274 Depth=3
	s_or_b64 exec, exec, s[28:29]
	v_cmp_ne_u32_e32 vcc, 0, v0
	s_xor_b64 s[28:29], s[12:13], -1
	s_and_b64 s[78:79], vcc, s[28:29]
	s_and_saveexec_b64 s[28:29], s[78:79]
	s_cbranch_execz .LBB4_414
; %bb.413:                              ;   in Loop: Header=BB4_274 Depth=3
	flat_store_dword v[56:57], v24
.LBB4_414:                              ;   in Loop: Header=BB4_274 Depth=3
	s_or_b64 exec, exec, s[28:29]
	v_and_b32_e32 v0, 48, v59
	v_cmp_ne_u32_e32 vcc, 0, v0
	s_and_saveexec_b64 s[28:29], vcc
	s_cbranch_execz .LBB4_273
; %bb.415:                              ;   in Loop: Header=BB4_274 Depth=3
	v_add_co_u32_e32 v36, vcc, 2, v36
	v_addc_co_u32_e32 v37, vcc, 0, v37, vcc
	flat_store_dwordx2 v[20:21], v[36:37]
	s_branch .LBB4_273
.LBB4_416:                              ;   in Loop: Header=BB4_271 Depth=2
	s_or_b64 exec, exec, s[42:43]
.LBB4_417:                              ;   in Loop: Header=BB4_271 Depth=2
	s_or_b64 exec, exec, s[40:41]
	v_cmp_gt_i32_e32 vcc, 2, v0
	s_and_saveexec_b64 s[40:41], vcc
	s_cbranch_execz .LBB4_270
; %bb.418:                              ;   in Loop: Header=BB4_271 Depth=2
	v_cmp_eq_u32_e64 s[76:77], 0, v0
	s_mov_b64 s[42:43], 0
	s_branch .LBB4_420
.LBB4_419:                              ;   in Loop: Header=BB4_420 Depth=3
	s_or_b64 exec, exec, s[28:29]
	v_add_u32_e32 v10, v8, v10
	s_mov_b64 s[76:77], 0
	s_andn2_b64 exec, exec, s[42:43]
	s_cbranch_execz .LBB4_269
.LBB4_420:                              ;   Parent Loop BB4_47 Depth=1
                                        ;     Parent Loop BB4_271 Depth=2
                                        ; =>    This Loop Header: Depth=3
                                        ;         Child Loop BB4_426 Depth 4
                                        ;         Child Loop BB4_454 Depth 4
	;; [unrolled: 1-line block ×3, first 2 shown]
	v_sub_u32_e32 v0, v46, v10
	v_min_i32_e32 v8, v8, v0
	v_and_b32_e32 v0, 12, v59
	v_cmp_ne_u32_e32 vcc, 0, v0
	s_and_saveexec_b64 s[78:79], vcc
	s_cbranch_execz .LBB4_446
; %bb.421:                              ;   in Loop: Header=BB4_420 Depth=3
	v_and_b32_e32 v3, 8, v59
	s_waitcnt vmcnt(0) lgkmcnt(0)
	v_add_co_u32_e32 v4, vcc, v26, v3
	v_addc_co_u32_e32 v5, vcc, 0, v27, vcc
	v_add_co_u32_e32 v50, vcc, 2, v36
	v_addc_co_u32_e32 v51, vcc, 0, v37, vcc
	v_cmp_lt_u64_e32 vcc, v[4:5], v[50:51]
	s_and_saveexec_b64 s[88:89], vcc
	s_cbranch_execz .LBB4_433
; %bb.422:                              ;   in Loop: Header=BB4_420 Depth=3
	v_and_b32_e32 v0, 64, v59
	s_mov_b32 s80, 0
	v_cmp_eq_u32_e32 vcc, 0, v0
	s_mov_b64 s[90:91], 0
                                        ; implicit-def: $sgpr92_sgpr93
                                        ; implicit-def: $sgpr94_sgpr95
                                        ; implicit-def: $sgpr30_sgpr31
	s_branch .LBB4_426
.LBB4_423:                              ;   in Loop: Header=BB4_426 Depth=4
	s_waitcnt vmcnt(0) lgkmcnt(0)
	v_add_co_u32_e64 v4, s[28:29], v26, v3
	v_addc_co_u32_e64 v5, s[28:29], 0, v27, s[28:29]
	v_cmp_ge_u64_e64 s[28:29], v[4:5], v[50:51]
	s_or_b64 s[38:39], s[38:39], exec
	s_orn2_b64 s[36:37], s[28:29], exec
.LBB4_424:                              ;   in Loop: Header=BB4_426 Depth=4
	s_or_b64 exec, exec, s[50:51]
	s_andn2_b64 s[28:29], s[30:31], exec
	s_and_b64 s[30:31], s[38:39], exec
	s_or_b64 s[30:31], s[28:29], s[30:31]
	s_andn2_b64 s[28:29], s[94:95], exec
	s_and_b64 s[94:95], s[36:37], exec
	s_or_b64 s[94:95], s[28:29], s[94:95]
.LBB4_425:                              ;   in Loop: Header=BB4_426 Depth=4
	s_or_b64 exec, exec, s[34:35]
	s_and_b64 s[28:29], exec, s[94:95]
	s_or_b64 s[90:91], s[28:29], s[90:91]
	s_andn2_b64 s[28:29], s[92:93], exec
	s_and_b64 s[92:93], s[30:31], exec
	s_or_b64 s[92:93], s[28:29], s[92:93]
	s_andn2_b64 exec, exec, s[90:91]
	s_cbranch_execz .LBB4_430
.LBB4_426:                              ;   Parent Loop BB4_47 Depth=1
                                        ;     Parent Loop BB4_271 Depth=2
                                        ;       Parent Loop BB4_420 Depth=3
                                        ; =>      This Inner Loop Header: Depth=4
	s_sleep 1
	s_waitcnt vmcnt(0) lgkmcnt(0)
	flat_load_dwordx2 v[26:27], v[20:21] glc
	s_or_b64 s[30:31], s[30:31], exec
	s_or_b64 s[94:95], s[94:95], exec
                                        ; implicit-def: $vgpr0
	s_and_saveexec_b64 s[34:35], vcc
	s_cbranch_execz .LBB4_425
; %bb.427:                              ;   in Loop: Header=BB4_426 Depth=4
	s_cmpk_lt_i32 s80, 0x270f
	s_cselect_b64 s[48:49], -1, 0
	s_cmpk_gt_i32 s80, 0x270e
	s_mov_b64 s[36:37], -1
	s_cbranch_scc0 .LBB4_429
; %bb.428:                              ;   in Loop: Header=BB4_426 Depth=4
	s_trap 2
	ds_read_b64 v[4:5], v0
	s_andn2_b64 s[48:49], s[48:49], exec
	s_mov_b32 s80, 0
	s_mov_b64 s[38:39], 0
	s_waitcnt vmcnt(0) lgkmcnt(0)
	flat_load_dword v0, v[4:5] glc
	s_waitcnt vmcnt(0) lgkmcnt(0)
	buffer_wbinvl1_vol
	v_cmp_eq_u32_e64 s[28:29], 0, v0
	s_and_b64 s[28:29], s[28:29], exec
	s_or_b64 s[48:49], s[48:49], s[28:29]
	s_and_saveexec_b64 s[50:51], s[48:49]
	s_cbranch_execz .LBB4_424
	s_branch .LBB4_423
.LBB4_429:                              ;   in Loop: Header=BB4_426 Depth=4
	s_add_i32 s80, s80, 1
	s_mov_b64 s[38:39], -1
                                        ; implicit-def: $vgpr0
	s_and_saveexec_b64 s[50:51], s[48:49]
	s_cbranch_execz .LBB4_424
	s_branch .LBB4_423
.LBB4_430:                              ;   in Loop: Header=BB4_420 Depth=3
	s_or_b64 exec, exec, s[90:91]
	s_xor_b64 s[28:29], s[92:93], -1
	s_and_saveexec_b64 s[90:91], s[28:29]
	s_xor_b64 s[28:29], exec, s[90:91]
	s_cbranch_execz .LBB4_432
; %bb.431:                              ;   in Loop: Header=BB4_420 Depth=3
	v_or_b32_e32 v59, 64, v59
	s_waitcnt lgkmcnt(0)
	ds_write_b32 v0, v0
	s_trap 2
.LBB4_432:                              ;   in Loop: Header=BB4_420 Depth=3
	s_or_b64 exec, exec, s[28:29]
.LBB4_433:                              ;   in Loop: Header=BB4_420 Depth=3
	s_or_b64 exec, exec, s[88:89]
	v_and_b32_e32 v0, 0x108, v59
	v_cmp_ne_u32_e32 vcc, s54, v0
	;;#ASMSTART
	s_wakeup
	;;#ASMEND
                                        ; implicit-def: $vgpr52_vgpr53
	s_and_saveexec_b64 s[28:29], vcc
	s_xor_b64 s[28:29], exec, s[28:29]
; %bb.434:                              ;   in Loop: Header=BB4_420 Depth=3
	v_and_b32_e32 v52, 7, v36
	v_mov_b32_e32 v53, v2
                                        ; implicit-def: $vgpr36_vgpr37
; %bb.435:                              ;   in Loop: Header=BB4_420 Depth=3
	s_andn2_saveexec_b64 s[28:29], s[28:29]
	s_cbranch_execz .LBB4_437
; %bb.436:                              ;   in Loop: Header=BB4_420 Depth=3
	v_and_b32_e32 v52, 7, v36
	v_mad_u64_u32 v[4:5], s[88:89], v52, 24, v[42:43]
	v_ashrrev_i32_e32 v9, 31, v8
	v_lshlrev_b64 v[6:7], 2, v[8:9]
	v_mov_b32_e32 v53, v2
	flat_store_dwordx2 v[4:5], v[6:7] offset:8
.LBB4_437:                              ;   in Loop: Header=BB4_420 Depth=3
	s_or_b64 exec, exec, s[28:29]
	v_and_b32_e32 v0, 0x100, v59
	v_cmp_ne_u32_e32 vcc, 0, v0
	s_mov_b64 s[28:29], -1
                                        ; implicit-def: $vgpr36_vgpr37
	s_and_saveexec_b64 s[88:89], vcc
	s_cbranch_execz .LBB4_441
; %bb.438:                              ;   in Loop: Header=BB4_420 Depth=3
	v_mad_u64_u32 v[54:55], s[28:29], v52, 24, v[42:43]
                                        ; implicit-def: $vgpr36_vgpr37
	v_mov_b32_e32 v0, v55
	v_mad_u64_u32 v[4:5], s[28:29], v53, 24, v[0:1]
	v_mov_b32_e32 v55, v4
	flat_load_dword v0, v[54:55]
	s_waitcnt vmcnt(0) lgkmcnt(0)
	v_cmp_ne_u32_e32 vcc, 1, v0
	v_cmp_eq_u32_e64 s[28:29], 1, v0
	s_and_saveexec_b64 s[90:91], s[28:29]
	s_cbranch_execz .LBB4_440
; %bb.439:                              ;   in Loop: Header=BB4_420 Depth=3
	flat_load_dword v4, v[54:55] offset:4 glc
	s_waitcnt vmcnt(0) lgkmcnt(0)
	v_ashrrev_i32_e32 v5, 31, v4
	v_lshrrev_b64 v[36:37], 2, v[4:5]
.LBB4_440:                              ;   in Loop: Header=BB4_420 Depth=3
	s_or_b64 exec, exec, s[90:91]
	s_orn2_b64 s[28:29], vcc, exec
.LBB4_441:                              ;   in Loop: Header=BB4_420 Depth=3
	s_or_b64 exec, exec, s[88:89]
	s_and_saveexec_b64 s[88:89], s[28:29]
	s_cbranch_execz .LBB4_443
; %bb.442:                              ;   in Loop: Header=BB4_420 Depth=3
	v_mul_lo_u32 v0, v53, v60
	v_mul_lo_u32 v4, v52, v33
	v_mad_u64_u32 v[36:37], s[28:29], v52, v60, 0
	v_add3_u32 v37, v37, v4, v0
.LBB4_443:                              ;   in Loop: Header=BB4_420 Depth=3
	s_or_b64 exec, exec, s[88:89]
	v_cmp_eq_u32_e32 vcc, 0, v3
	v_lshlrev_b64 v[3:4], 2, v[36:37]
	v_cndmask_b32_e32 v0, v25, v31, vcc
	v_add_co_u32_e32 v3, vcc, v29, v3
	v_addc_co_u32_e32 v4, vcc, v30, v4, vcc
	v_add_u32_e32 v0, v0, v0
	ds_write_b64 v0, v[3:4] offset:584
	v_and_b32_e32 v0, 0x2000, v59
	v_cmp_ne_u32_e32 vcc, 0, v0
	s_and_saveexec_b64 s[28:29], vcc
	s_cbranch_execz .LBB4_445
; %bb.444:                              ;   in Loop: Header=BB4_420 Depth=3
	ds_read_b64 v[3:4], v0 offset:872
	s_waitcnt lgkmcnt(0)
	v_add_co_u32_e32 v3, vcc, 1, v3
	v_addc_co_u32_e32 v4, vcc, 0, v4, vcc
	ds_write_b64 v0, v[3:4] offset:872
.LBB4_445:                              ;   in Loop: Header=BB4_420 Depth=3
	s_or_b64 exec, exec, s[28:29]
	v_mov_b32_e32 v36, v50
	v_mov_b32_e32 v37, v51
.LBB4_446:                              ;   in Loop: Header=BB4_420 Depth=3
	s_or_b64 exec, exec, s[78:79]
	s_xor_b64 s[28:29], s[76:77], -1
	s_and_b64 s[28:29], exec, s[28:29]
	s_or_b64 s[42:43], s[28:29], s[42:43]
	s_and_saveexec_b64 s[28:29], s[10:11]
	s_cbranch_execz .LBB4_465
; %bb.447:                              ;   in Loop: Header=BB4_420 Depth=3
	s_and_saveexec_b64 s[76:77], s[56:57]
	s_xor_b64 s[76:77], exec, s[76:77]
	s_cbranch_execz .LBB4_462
; %bb.448:                              ;   in Loop: Header=BB4_420 Depth=3
	s_and_saveexec_b64 s[78:79], s[16:17]
	s_cbranch_execz .LBB4_461
; %bb.449:                              ;   in Loop: Header=BB4_420 Depth=3
	s_mov_b64 s[90:91], exec
	v_mbcnt_lo_u32_b32 v0, s90, 0
	v_mbcnt_hi_u32_b32 v0, s91, v0
	v_cmp_eq_u32_e32 vcc, 0, v0
	s_waitcnt vmcnt(0) lgkmcnt(0)
	buffer_wbinvl1_vol
	s_and_saveexec_b64 s[88:89], vcc
	s_cbranch_execz .LBB4_451
; %bb.450:                              ;   in Loop: Header=BB4_420 Depth=3
	s_bcnt1_i32_b64 s90, s[90:91]
	v_mov_b32_e32 v3, s90
	v_mov_b32_e32 v4, v2
	ds_add_u64 v0, v[3:4]
	s_trap 2
.LBB4_451:                              ;   in Loop: Header=BB4_420 Depth=3
	s_or_b64 exec, exec, s[88:89]
	s_trap 2
	ds_read_b64 v[3:4], v0
	s_waitcnt lgkmcnt(0)
	v_add_co_u32_e32 v12, vcc, v12, v61
	v_addc_co_u32_e32 v13, vcc, 0, v13, vcc
	v_cmp_lt_u64_e32 vcc, v[3:4], v[12:13]
	s_and_saveexec_b64 s[88:89], vcc
	s_cbranch_execz .LBB4_460
; %bb.452:                              ;   in Loop: Header=BB4_420 Depth=3
	s_mov_b32 s36, 0
	s_mov_b64 s[90:91], 0
                                        ; implicit-def: $sgpr92_sgpr93
                                        ; implicit-def: $sgpr94_sgpr95
	s_branch .LBB4_454
.LBB4_453:                              ;   in Loop: Header=BB4_454 Depth=4
	s_or_b64 exec, exec, s[34:35]
	s_and_b64 vcc, exec, vcc
	s_or_b64 s[90:91], vcc, s[90:91]
	s_andn2_b64 s[92:93], s[92:93], exec
	s_and_b64 vcc, s[94:95], exec
	s_or_b64 s[92:93], s[92:93], vcc
	s_andn2_b64 exec, exec, s[90:91]
	s_cbranch_execz .LBB4_458
.LBB4_454:                              ;   Parent Loop BB4_47 Depth=1
                                        ;     Parent Loop BB4_271 Depth=2
                                        ;       Parent Loop BB4_420 Depth=3
                                        ; =>      This Inner Loop Header: Depth=4
	s_add_i32 s36, s36, 1
	s_cmpk_lg_i32 s36, 0x2710
	s_cselect_b64 s[30:31], -1, 0
	s_and_b64 vcc, exec, s[30:31]
	s_cbranch_vccz .LBB4_456
; %bb.455:                              ;   in Loop: Header=BB4_454 Depth=4
	s_mov_b64 vcc, -1
	s_or_b64 s[94:95], s[94:95], exec
	s_and_saveexec_b64 s[34:35], s[30:31]
	s_cbranch_execz .LBB4_453
	s_branch .LBB4_457
.LBB4_456:                              ;   in Loop: Header=BB4_454 Depth=4
	s_trap 2
	ds_read_b64 v[3:4], v0
	s_andn2_b64 s[30:31], s[30:31], exec
	s_mov_b32 s36, 0
	s_waitcnt lgkmcnt(0)
	flat_load_dword v0, v[3:4] glc
	s_waitcnt vmcnt(0) lgkmcnt(0)
	buffer_wbinvl1_vol
	v_cmp_eq_u32_e32 vcc, 0, v0
	s_and_b64 vcc, vcc, exec
	s_or_b64 s[30:31], s[30:31], vcc
	s_mov_b64 vcc, -1
	s_or_b64 s[94:95], s[94:95], exec
	s_and_saveexec_b64 s[34:35], s[30:31]
	s_cbranch_execz .LBB4_453
.LBB4_457:                              ;   in Loop: Header=BB4_454 Depth=4
	s_sleep 1
	s_trap 2
	ds_read_b64 v[3:4], v0
	s_waitcnt lgkmcnt(0)
	s_andn2_b64 s[94:95], s[94:95], exec
	v_cmp_ge_u64_e32 vcc, v[3:4], v[12:13]
	s_orn2_b64 vcc, vcc, exec
	s_branch .LBB4_453
.LBB4_458:                              ;   in Loop: Header=BB4_420 Depth=3
	s_or_b64 exec, exec, s[90:91]
	s_and_saveexec_b64 s[90:91], s[92:93]
	s_xor_b64 s[90:91], exec, s[90:91]
	s_cbranch_execz .LBB4_460
; %bb.459:                              ;   in Loop: Header=BB4_420 Depth=3
	ds_write_b32 v0, v24
	s_trap 2
.LBB4_460:                              ;   in Loop: Header=BB4_420 Depth=3
	s_or_b64 exec, exec, s[88:89]
	;;#ASMSTART
	s_wakeup
	;;#ASMEND
.LBB4_461:                              ;   in Loop: Header=BB4_420 Depth=3
	s_or_b64 exec, exec, s[78:79]
.LBB4_462:                              ;   in Loop: Header=BB4_420 Depth=3
	s_andn2_saveexec_b64 s[76:77], s[76:77]
	s_cbranch_execz .LBB4_464
; %bb.463:                              ;   in Loop: Header=BB4_420 Depth=3
	s_waitcnt vmcnt(0) lgkmcnt(0)
	buffer_wbinvl1_vol
	s_barrier
.LBB4_464:                              ;   in Loop: Header=BB4_420 Depth=3
	s_or_b64 exec, exec, s[76:77]
.LBB4_465:                              ;   in Loop: Header=BB4_420 Depth=3
	s_or_b64 exec, exec, s[28:29]
                                        ; implicit-def: $vgpr0
	s_and_saveexec_b64 s[28:29], s[62:63]
	s_xor_b64 s[28:29], exec, s[28:29]
	s_cbranch_execz .LBB4_477
; %bb.466:                              ;   in Loop: Header=BB4_420 Depth=3
	s_and_saveexec_b64 s[76:77], s[56:57]
	s_xor_b64 s[76:77], exec, s[76:77]
	s_cbranch_execz .LBB4_482
; %bb.467:                              ;   in Loop: Header=BB4_420 Depth=3
	s_and_saveexec_b64 s[78:79], s[16:17]
	s_cbranch_execz .LBB4_481
; %bb.468:                              ;   in Loop: Header=BB4_420 Depth=3
	s_mov_b64 s[90:91], exec
	v_mbcnt_lo_u32_b32 v0, s90, 0
	v_mbcnt_hi_u32_b32 v0, s91, v0
	v_cmp_eq_u32_e32 vcc, 0, v0
	;;#ASMSTART
	s_waitcnt lgkmcnt(0) vmcnt(0)
	;;#ASMEND
	s_and_saveexec_b64 s[88:89], vcc
	s_cbranch_execz .LBB4_470
; %bb.469:                              ;   in Loop: Header=BB4_420 Depth=3
	s_bcnt1_i32_b64 s90, s[90:91]
	v_mov_b32_e32 v3, s90
	v_mov_b32_e32 v4, v2
	s_waitcnt lgkmcnt(0)
	ds_add_u64 v0, v[3:4]
	s_trap 2
.LBB4_470:                              ;   in Loop: Header=BB4_420 Depth=3
	s_or_b64 exec, exec, s[88:89]
	s_trap 2
	ds_read_b64 v[3:4], v0
	s_waitcnt lgkmcnt(0)
	v_add_co_u32_e32 v12, vcc, v12, v61
	v_addc_co_u32_e32 v13, vcc, 0, v13, vcc
	v_cmp_lt_u64_e32 vcc, v[3:4], v[12:13]
	s_and_saveexec_b64 s[88:89], vcc
	s_cbranch_execz .LBB4_480
; %bb.471:                              ;   in Loop: Header=BB4_420 Depth=3
	s_mov_b32 s36, 0
	s_mov_b64 s[90:91], 0
                                        ; implicit-def: $sgpr92_sgpr93
                                        ; implicit-def: $sgpr94_sgpr95
	s_branch .LBB4_473
.LBB4_472:                              ;   in Loop: Header=BB4_473 Depth=4
	s_or_b64 exec, exec, s[34:35]
	s_and_b64 vcc, exec, vcc
	s_or_b64 s[90:91], vcc, s[90:91]
	s_andn2_b64 s[92:93], s[92:93], exec
	s_and_b64 vcc, s[94:95], exec
	s_or_b64 s[92:93], s[92:93], vcc
	s_andn2_b64 exec, exec, s[90:91]
	s_cbranch_execz .LBB4_478
.LBB4_473:                              ;   Parent Loop BB4_47 Depth=1
                                        ;     Parent Loop BB4_271 Depth=2
                                        ;       Parent Loop BB4_420 Depth=3
                                        ; =>      This Inner Loop Header: Depth=4
	s_add_i32 s36, s36, 1
	s_cmpk_lg_i32 s36, 0x2710
	s_cselect_b64 s[30:31], -1, 0
	s_and_b64 vcc, exec, s[30:31]
	s_cbranch_vccz .LBB4_475
; %bb.474:                              ;   in Loop: Header=BB4_473 Depth=4
	s_mov_b64 vcc, -1
	s_or_b64 s[94:95], s[94:95], exec
	s_and_saveexec_b64 s[34:35], s[30:31]
	s_cbranch_execz .LBB4_472
	s_branch .LBB4_476
.LBB4_475:                              ;   in Loop: Header=BB4_473 Depth=4
	s_trap 2
	ds_read_b64 v[3:4], v0
	s_andn2_b64 s[30:31], s[30:31], exec
	s_mov_b32 s36, 0
	s_waitcnt vmcnt(0) lgkmcnt(0)
	flat_load_dword v0, v[3:4] glc
	s_waitcnt vmcnt(0) lgkmcnt(0)
	buffer_wbinvl1_vol
	v_cmp_eq_u32_e32 vcc, 0, v0
	s_and_b64 vcc, vcc, exec
	s_or_b64 s[30:31], s[30:31], vcc
	s_mov_b64 vcc, -1
	s_or_b64 s[94:95], s[94:95], exec
	s_and_saveexec_b64 s[34:35], s[30:31]
	s_cbranch_execz .LBB4_472
.LBB4_476:                              ;   in Loop: Header=BB4_473 Depth=4
	s_sleep 1
	s_trap 2
	ds_read_b64 v[3:4], v0
	s_waitcnt lgkmcnt(0)
	s_andn2_b64 s[94:95], s[94:95], exec
	v_cmp_ge_u64_e32 vcc, v[3:4], v[12:13]
	s_orn2_b64 vcc, vcc, exec
	s_branch .LBB4_472
.LBB4_477:                              ;   in Loop: Header=BB4_420 Depth=3
	s_andn2_saveexec_b64 s[28:29], s[28:29]
	s_cbranch_execnz .LBB4_485
	s_branch .LBB4_488
.LBB4_478:                              ;   in Loop: Header=BB4_420 Depth=3
	s_or_b64 exec, exec, s[90:91]
	s_and_saveexec_b64 s[90:91], s[92:93]
	s_xor_b64 s[90:91], exec, s[90:91]
	s_cbranch_execz .LBB4_480
; %bb.479:                              ;   in Loop: Header=BB4_420 Depth=3
	ds_write_b32 v0, v24
	s_trap 2
.LBB4_480:                              ;   in Loop: Header=BB4_420 Depth=3
	s_or_b64 exec, exec, s[88:89]
	;;#ASMSTART
	s_wakeup
	;;#ASMEND
.LBB4_481:                              ;   in Loop: Header=BB4_420 Depth=3
	s_or_b64 exec, exec, s[78:79]
.LBB4_482:                              ;   in Loop: Header=BB4_420 Depth=3
	s_andn2_saveexec_b64 s[76:77], s[76:77]
	s_cbranch_execz .LBB4_484
; %bb.483:                              ;   in Loop: Header=BB4_420 Depth=3
	;;#ASMSTART
	s_waitcnt lgkmcnt(0) vmcnt(0)
	;;#ASMEND
	s_waitcnt vmcnt(0) lgkmcnt(0)
	s_barrier
.LBB4_484:                              ;   in Loop: Header=BB4_420 Depth=3
	s_or_b64 exec, exec, s[76:77]
	v_and_b32_e32 v0, 16, v59
	s_andn2_saveexec_b64 s[28:29], s[28:29]
	s_cbranch_execz .LBB4_488
.LBB4_485:                              ;   in Loop: Header=BB4_420 Depth=3
	s_trap 2
	ds_read_b32 v0, v0
	v_cmp_lt_i32_e32 vcc, 0, v8
	v_and_b32_e32 v3, 16, v59
	s_waitcnt lgkmcnt(0)
	v_readfirstlane_b32 s76, v0
	s_cmp_eq_u32 s76, 0
	s_cselect_b64 s[76:77], -1, 0
	s_and_b64 s[76:77], vcc, s[76:77]
	v_cmp_ne_u32_e32 vcc, 0, v3
	v_and_b32_e32 v0, 16, v59
	s_and_b64 s[78:79], vcc, s[76:77]
	s_and_saveexec_b64 s[76:77], s[78:79]
	s_cbranch_execz .LBB4_487
; %bb.486:                              ;   in Loop: Header=BB4_420 Depth=3
	v_mov_b32_e32 v0, 1
	s_waitcnt vmcnt(0)
	buffer_wbinvl1_vol
.LBB4_487:                              ;   in Loop: Header=BB4_420 Depth=3
	s_or_b64 exec, exec, s[76:77]
.LBB4_488:                              ;   in Loop: Header=BB4_420 Depth=3
	s_or_b64 exec, exec, s[28:29]
	v_cmp_ne_u32_e32 vcc, 0, v0
	s_xor_b64 s[28:29], s[12:13], -1
	s_and_b64 s[76:77], vcc, s[28:29]
	s_and_saveexec_b64 s[28:29], s[76:77]
	s_cbranch_execz .LBB4_490
; %bb.489:                              ;   in Loop: Header=BB4_420 Depth=3
	flat_store_dword v[56:57], v24
.LBB4_490:                              ;   in Loop: Header=BB4_420 Depth=3
	s_or_b64 exec, exec, s[28:29]
	v_and_b32_e32 v0, 48, v59
	v_cmp_ne_u32_e32 vcc, 0, v0
	s_and_saveexec_b64 s[28:29], vcc
	s_cbranch_execz .LBB4_419
; %bb.491:                              ;   in Loop: Header=BB4_420 Depth=3
	v_add_co_u32_e32 v36, vcc, 2, v36
	v_addc_co_u32_e32 v37, vcc, 0, v37, vcc
	flat_store_dwordx2 v[20:21], v[36:37]
	s_branch .LBB4_419
.LBB4_492:                              ;   in Loop: Header=BB4_47 Depth=1
	buffer_load_dword v46, off, s[0:3], s33 offset:88 ; 4-byte Folded Reload
.LBB4_493:                              ;   in Loop: Header=BB4_47 Depth=1
	s_waitcnt vmcnt(0)
	v_mov_b32_e32 v22, 0xd0
	v_mov_b32_e32 v23, 0x88
	v_add_u32_e32 v25, 0xfffffc00, v14
	buffer_load_dword v5, off, s[0:3], s33 offset:116 ; 4-byte Folded Reload
	buffer_load_dword v6, off, s[0:3], s33 offset:120 ; 4-byte Folded Reload
	v_mov_b32_e32 v52, 0
	s_waitcnt vmcnt(0)
	v_mul_lo_u32 v3, v5, s53
	v_mul_lo_u32 v0, v6, s52
	v_mad_u64_u32 v[8:9], s[28:29], v5, s52, 0
	v_add3_u32 v9, v9, v3, v0
	buffer_load_dword v3, off, s[0:3], s33 offset:108 ; 4-byte Folded Reload
	buffer_load_dword v4, off, s[0:3], s33 offset:112 ; 4-byte Folded Reload
	v_mov_b32_e32 v0, 0
	s_waitcnt vmcnt(0)
	v_sub_co_u32_e32 v3, vcc, v3, v8
	v_subb_co_u32_e32 v4, vcc, v4, v9, vcc
	v_cmp_lt_i64_e32 vcc, v[5:6], v[3:4]
	v_cndmask_b32_e32 v4, v3, v5, vcc
	v_max_i32_e32 v3, 0, v4
	v_add_u32_e32 v5, 31, v3
	v_lshrrev_b32_e32 v5, 1, v5
	v_and_b32_e32 v5, 0x3ffffff0, v5
	v_cmp_lt_i32_e32 vcc, 0, v4
	v_max_i32_e32 v50, s68, v5
	s_and_b64 s[28:29], s[72:73], vcc
	s_and_saveexec_b64 s[76:77], s[28:29]
	s_cbranch_execz .LBB4_674
; %bb.494:                              ;   in Loop: Header=BB4_47 Depth=1
	buffer_load_dword v4, off, s[0:3], s33 offset:132 ; 4-byte Folded Reload
	buffer_load_dword v5, off, s[0:3], s33 offset:136 ; 4-byte Folded Reload
	s_mov_b32 s75, 1
	s_mov_b64 s[88:89], -1
	v_mov_b32_e32 v52, 0
	s_mov_b64 s[78:79], 0
	s_waitcnt vmcnt(0)
	v_add_co_u32_e32 v4, vcc, v8, v4
	v_addc_co_u32_e32 v5, vcc, v9, v5, vcc
	v_lshlrev_b64 v[16:17], 2, v[4:5]
	buffer_store_dword v16, off, s[0:3], s33 offset:160 ; 4-byte Folded Spill
	s_nop 0
	buffer_store_dword v17, off, s[0:3], s33 offset:164 ; 4-byte Folded Spill
	s_branch .LBB4_496
.LBB4_495:                              ;   in Loop: Header=BB4_496 Depth=2
	s_or_b64 exec, exec, s[28:29]
	v_add_u32_e32 v52, v50, v52
	v_cmp_ge_i32_e32 vcc, v52, v3
	s_xor_b64 s[28:29], s[88:89], -1
	s_or_b64 s[28:29], s[28:29], vcc
	s_and_b64 s[28:29], exec, s[28:29]
	s_or_b64 s[78:79], s[28:29], s[78:79]
	s_mov_b64 s[88:89], 0
	v_mov_b32_e32 v0, s75
	s_mov_b32 s75, 2
	s_andn2_b64 exec, exec, s[78:79]
	s_cbranch_execz .LBB4_673
.LBB4_496:                              ;   Parent Loop BB4_47 Depth=1
                                        ; =>  This Loop Header: Depth=2
                                        ;       Child Loop BB4_504 Depth 3
                                        ;       Child Loop BB4_532 Depth 3
	;; [unrolled: 1-line block ×9, first 2 shown]
                                        ;         Child Loop BB4_586 Depth 4
                                        ;       Child Loop BB4_595 Depth 3
                                        ;       Child Loop BB4_600 Depth 3
                                        ;         Child Loop BB4_601 Depth 4
                                        ;       Child Loop BB4_639 Depth 3
                                        ;       Child Loop BB4_658 Depth 3
	s_and_saveexec_b64 s[28:29], s[4:5]
	s_cbranch_execz .LBB4_498
; %bb.497:                              ;   in Loop: Header=BB4_496 Depth=2
	s_trap 2
	ds_read2_b64 v[4:7], v0 offset1:1
	v_ashrrev_i32_e32 v53, 31, v52
	s_waitcnt vmcnt(0) lgkmcnt(0)
	v_add_co_u32_e32 v0, vcc, v4, v16
	v_addc_co_u32_e32 v9, vcc, v5, v17, vcc
	v_lshlrev_b64 v[4:5], 2, v[52:53]
	v_add_co_u32_e32 v8, vcc, v0, v4
	v_addc_co_u32_e32 v9, vcc, v9, v5, vcc
	ds_write_b64 v0, v[8:9]
	v_add_co_u32_e32 v0, vcc, v6, v16
	v_addc_co_u32_e32 v7, vcc, v7, v17, vcc
	v_add_co_u32_e32 v6, vcc, v0, v4
	v_addc_co_u32_e32 v7, vcc, v7, v5, vcc
	ds_write_b64 v0, v[6:7]
	ds_read_b64 v[6:7], v0
	s_waitcnt lgkmcnt(0)
	v_add_co_u32_e32 v0, vcc, v6, v16
	v_addc_co_u32_e32 v8, vcc, v7, v17, vcc
	v_add_co_u32_e32 v0, vcc, v0, v4
	v_addc_co_u32_e32 v4, vcc, v8, v5, vcc
	v_cmp_ne_u64_e32 vcc, 0, v[6:7]
	v_cndmask_b32_e32 v5, 0, v4, vcc
	v_cndmask_b32_e32 v4, 0, v0, vcc
	ds_write_b64 v0, v[4:5]
.LBB4_498:                              ;   in Loop: Header=BB4_496 Depth=2
	s_or_b64 exec, exec, s[28:29]
	v_sub_u32_e32 v0, v3, v52
	v_min_i32_e32 v50, v50, v0
	v_and_b32_e32 v0, 12, v59
	v_cmp_ne_u32_e32 vcc, 0, v0
	s_and_saveexec_b64 s[40:41], vcc
	s_cbranch_execz .LBB4_524
; %bb.499:                              ;   in Loop: Header=BB4_496 Depth=2
	v_and_b32_e32 v38, 8, v59
	s_waitcnt vmcnt(0) lgkmcnt(0)
	v_add_co_u32_e32 v4, vcc, v26, v38
	v_addc_co_u32_e32 v5, vcc, 0, v27, vcc
	v_add_co_u32_e32 v8, vcc, 2, v36
	v_addc_co_u32_e32 v9, vcc, 0, v37, vcc
	v_cmp_lt_u64_e32 vcc, v[4:5], v[8:9]
	s_and_saveexec_b64 s[42:43], vcc
	s_cbranch_execz .LBB4_511
; %bb.500:                              ;   in Loop: Header=BB4_496 Depth=2
	v_and_b32_e32 v0, 64, v59
	s_mov_b32 s80, 0
	v_cmp_eq_u32_e32 vcc, 0, v0
	s_mov_b64 s[90:91], 0
                                        ; implicit-def: $sgpr92_sgpr93
                                        ; implicit-def: $sgpr94_sgpr95
                                        ; implicit-def: $sgpr30_sgpr31
	s_branch .LBB4_504
.LBB4_501:                              ;   in Loop: Header=BB4_504 Depth=3
	s_waitcnt vmcnt(0) lgkmcnt(0)
	v_add_co_u32_e64 v4, s[28:29], v26, v38
	v_addc_co_u32_e64 v5, s[28:29], 0, v27, s[28:29]
	v_cmp_ge_u64_e64 s[28:29], v[4:5], v[8:9]
	s_or_b64 s[38:39], s[38:39], exec
	s_orn2_b64 s[36:37], s[28:29], exec
.LBB4_502:                              ;   in Loop: Header=BB4_504 Depth=3
	s_or_b64 exec, exec, s[50:51]
	s_andn2_b64 s[28:29], s[30:31], exec
	s_and_b64 s[30:31], s[38:39], exec
	s_or_b64 s[30:31], s[28:29], s[30:31]
	s_andn2_b64 s[28:29], s[94:95], exec
	s_and_b64 s[94:95], s[36:37], exec
	s_or_b64 s[94:95], s[28:29], s[94:95]
.LBB4_503:                              ;   in Loop: Header=BB4_504 Depth=3
	s_or_b64 exec, exec, s[34:35]
	s_and_b64 s[28:29], exec, s[94:95]
	s_or_b64 s[90:91], s[28:29], s[90:91]
	s_andn2_b64 s[28:29], s[92:93], exec
	s_and_b64 s[92:93], s[30:31], exec
	s_or_b64 s[92:93], s[28:29], s[92:93]
	s_andn2_b64 exec, exec, s[90:91]
	s_cbranch_execz .LBB4_508
.LBB4_504:                              ;   Parent Loop BB4_47 Depth=1
                                        ;     Parent Loop BB4_496 Depth=2
                                        ; =>    This Inner Loop Header: Depth=3
	s_sleep 1
	s_waitcnt vmcnt(0) lgkmcnt(0)
	flat_load_dwordx2 v[26:27], v[20:21] glc
	s_or_b64 s[30:31], s[30:31], exec
	s_or_b64 s[94:95], s[94:95], exec
                                        ; implicit-def: $vgpr0
	s_and_saveexec_b64 s[34:35], vcc
	s_cbranch_execz .LBB4_503
; %bb.505:                              ;   in Loop: Header=BB4_504 Depth=3
	s_cmpk_lt_i32 s80, 0x270f
	s_cselect_b64 s[48:49], -1, 0
	s_cmpk_gt_i32 s80, 0x270e
	s_mov_b64 s[36:37], -1
	s_cbranch_scc0 .LBB4_507
; %bb.506:                              ;   in Loop: Header=BB4_504 Depth=3
	s_trap 2
	ds_read_b64 v[4:5], v0
	s_andn2_b64 s[48:49], s[48:49], exec
	s_mov_b32 s80, 0
	s_mov_b64 s[38:39], 0
	s_waitcnt vmcnt(0) lgkmcnt(0)
	flat_load_dword v0, v[4:5] glc
	s_waitcnt vmcnt(0) lgkmcnt(0)
	buffer_wbinvl1_vol
	v_cmp_eq_u32_e64 s[28:29], 0, v0
	s_and_b64 s[28:29], s[28:29], exec
	s_or_b64 s[48:49], s[48:49], s[28:29]
	s_and_saveexec_b64 s[50:51], s[48:49]
	s_cbranch_execz .LBB4_502
	s_branch .LBB4_501
.LBB4_507:                              ;   in Loop: Header=BB4_504 Depth=3
	s_add_i32 s80, s80, 1
	s_mov_b64 s[38:39], -1
                                        ; implicit-def: $vgpr0
	s_and_saveexec_b64 s[50:51], s[48:49]
	s_cbranch_execz .LBB4_502
	s_branch .LBB4_501
.LBB4_508:                              ;   in Loop: Header=BB4_496 Depth=2
	s_or_b64 exec, exec, s[90:91]
	s_xor_b64 s[28:29], s[92:93], -1
	s_and_saveexec_b64 s[90:91], s[28:29]
	s_xor_b64 s[28:29], exec, s[90:91]
	s_cbranch_execz .LBB4_510
; %bb.509:                              ;   in Loop: Header=BB4_496 Depth=2
	v_or_b32_e32 v59, 64, v59
	s_waitcnt lgkmcnt(0)
	ds_write_b32 v0, v0
	s_trap 2
.LBB4_510:                              ;   in Loop: Header=BB4_496 Depth=2
	s_or_b64 exec, exec, s[28:29]
.LBB4_511:                              ;   in Loop: Header=BB4_496 Depth=2
	s_or_b64 exec, exec, s[42:43]
	v_and_b32_e32 v0, 0x108, v59
	v_cmp_ne_u32_e32 vcc, s54, v0
	;;#ASMSTART
	s_wakeup
	;;#ASMEND
                                        ; implicit-def: $vgpr10_vgpr11
	s_and_saveexec_b64 s[28:29], vcc
	s_xor_b64 s[28:29], exec, s[28:29]
; %bb.512:                              ;   in Loop: Header=BB4_496 Depth=2
	v_and_b32_e32 v10, 7, v36
	v_mov_b32_e32 v11, v2
                                        ; implicit-def: $vgpr36_vgpr37
; %bb.513:                              ;   in Loop: Header=BB4_496 Depth=2
	s_andn2_saveexec_b64 s[28:29], s[28:29]
	s_cbranch_execz .LBB4_515
; %bb.514:                              ;   in Loop: Header=BB4_496 Depth=2
	v_and_b32_e32 v10, 7, v36
	v_mad_u64_u32 v[4:5], s[42:43], v10, 24, v[42:43]
	v_ashrrev_i32_e32 v51, 31, v50
	v_lshlrev_b64 v[6:7], 2, v[50:51]
	v_mov_b32_e32 v11, v2
	flat_store_dwordx2 v[4:5], v[6:7] offset:8
.LBB4_515:                              ;   in Loop: Header=BB4_496 Depth=2
	s_or_b64 exec, exec, s[28:29]
	v_and_b32_e32 v0, 0x100, v59
	v_cmp_ne_u32_e32 vcc, 0, v0
	s_mov_b64 s[28:29], -1
                                        ; implicit-def: $vgpr36_vgpr37
	s_and_saveexec_b64 s[42:43], vcc
	s_cbranch_execz .LBB4_519
; %bb.516:                              ;   in Loop: Header=BB4_496 Depth=2
	v_mad_u64_u32 v[40:41], s[28:29], v10, 24, v[42:43]
                                        ; implicit-def: $vgpr36_vgpr37
	v_mov_b32_e32 v0, v41
	v_mad_u64_u32 v[4:5], s[28:29], v11, 24, v[0:1]
	v_mov_b32_e32 v41, v4
	flat_load_dword v0, v[40:41]
	s_waitcnt vmcnt(0) lgkmcnt(0)
	v_cmp_ne_u32_e32 vcc, 1, v0
	v_cmp_eq_u32_e64 s[28:29], 1, v0
	s_and_saveexec_b64 s[90:91], s[28:29]
	s_cbranch_execz .LBB4_518
; %bb.517:                              ;   in Loop: Header=BB4_496 Depth=2
	flat_load_dword v4, v[40:41] offset:4 glc
	s_waitcnt vmcnt(0) lgkmcnt(0)
	v_ashrrev_i32_e32 v5, 31, v4
	v_lshrrev_b64 v[36:37], 2, v[4:5]
.LBB4_518:                              ;   in Loop: Header=BB4_496 Depth=2
	s_or_b64 exec, exec, s[90:91]
	s_orn2_b64 s[28:29], vcc, exec
.LBB4_519:                              ;   in Loop: Header=BB4_496 Depth=2
	s_or_b64 exec, exec, s[42:43]
	s_and_saveexec_b64 s[42:43], s[28:29]
	s_cbranch_execz .LBB4_521
; %bb.520:                              ;   in Loop: Header=BB4_496 Depth=2
	v_mul_lo_u32 v0, v11, v60
	v_mul_lo_u32 v4, v10, v33
	v_mad_u64_u32 v[36:37], s[28:29], v10, v60, 0
	v_add3_u32 v37, v37, v4, v0
.LBB4_521:                              ;   in Loop: Header=BB4_496 Depth=2
	s_or_b64 exec, exec, s[42:43]
	v_lshlrev_b64 v[4:5], 2, v[36:37]
	v_cmp_eq_u32_e32 vcc, 0, v38
	v_cndmask_b32_e32 v0, v22, v31, vcc
	v_add_co_u32_e32 v4, vcc, v29, v4
	v_addc_co_u32_e32 v5, vcc, v30, v5, vcc
	v_add_u32_e32 v0, v0, v0
	ds_write_b64 v0, v[4:5] offset:584
	v_and_b32_e32 v0, 0x2000, v59
	v_cmp_ne_u32_e32 vcc, 0, v0
	s_and_saveexec_b64 s[28:29], vcc
	s_cbranch_execz .LBB4_523
; %bb.522:                              ;   in Loop: Header=BB4_496 Depth=2
	ds_read_b64 v[4:5], v0 offset:872
	s_waitcnt lgkmcnt(0)
	v_add_co_u32_e32 v4, vcc, 1, v4
	v_addc_co_u32_e32 v5, vcc, 0, v5, vcc
	ds_write_b64 v0, v[4:5] offset:872
.LBB4_523:                              ;   in Loop: Header=BB4_496 Depth=2
	s_or_b64 exec, exec, s[28:29]
	v_mov_b32_e32 v37, v9
	v_mov_b32_e32 v36, v8
.LBB4_524:                              ;   in Loop: Header=BB4_496 Depth=2
	s_or_b64 exec, exec, s[40:41]
	s_and_saveexec_b64 s[28:29], s[10:11]
	s_cbranch_execz .LBB4_543
; %bb.525:                              ;   in Loop: Header=BB4_496 Depth=2
	s_and_saveexec_b64 s[40:41], s[56:57]
	s_xor_b64 s[40:41], exec, s[40:41]
	s_cbranch_execz .LBB4_540
; %bb.526:                              ;   in Loop: Header=BB4_496 Depth=2
	s_and_saveexec_b64 s[42:43], s[16:17]
	s_cbranch_execz .LBB4_539
; %bb.527:                              ;   in Loop: Header=BB4_496 Depth=2
	s_mov_b64 s[92:93], exec
	v_mbcnt_lo_u32_b32 v0, s92, 0
	v_mbcnt_hi_u32_b32 v0, s93, v0
	v_cmp_eq_u32_e32 vcc, 0, v0
	s_waitcnt vmcnt(0) lgkmcnt(0)
	buffer_wbinvl1_vol
	s_and_saveexec_b64 s[90:91], vcc
	s_cbranch_execz .LBB4_529
; %bb.528:                              ;   in Loop: Header=BB4_496 Depth=2
	s_bcnt1_i32_b64 s92, s[92:93]
	v_mov_b32_e32 v4, s92
	v_mov_b32_e32 v5, v2
	ds_add_u64 v0, v[4:5]
	s_trap 2
.LBB4_529:                              ;   in Loop: Header=BB4_496 Depth=2
	s_or_b64 exec, exec, s[90:91]
	s_trap 2
	ds_read_b64 v[4:5], v0
	s_waitcnt lgkmcnt(0)
	v_add_co_u32_e32 v12, vcc, v12, v61
	v_addc_co_u32_e32 v13, vcc, 0, v13, vcc
	v_cmp_lt_u64_e32 vcc, v[4:5], v[12:13]
	s_and_saveexec_b64 s[90:91], vcc
	s_cbranch_execz .LBB4_538
; %bb.530:                              ;   in Loop: Header=BB4_496 Depth=2
	s_mov_b32 s38, 0
	s_mov_b64 s[92:93], 0
                                        ; implicit-def: $sgpr94_sgpr95
                                        ; implicit-def: $sgpr30_sgpr31
	s_branch .LBB4_532
.LBB4_531:                              ;   in Loop: Header=BB4_532 Depth=3
	s_or_b64 exec, exec, s[36:37]
	s_and_b64 vcc, exec, vcc
	s_or_b64 s[92:93], vcc, s[92:93]
	s_andn2_b64 s[94:95], s[94:95], exec
	s_and_b64 vcc, s[30:31], exec
	s_or_b64 s[94:95], s[94:95], vcc
	s_andn2_b64 exec, exec, s[92:93]
	s_cbranch_execz .LBB4_536
.LBB4_532:                              ;   Parent Loop BB4_47 Depth=1
                                        ;     Parent Loop BB4_496 Depth=2
                                        ; =>    This Inner Loop Header: Depth=3
	s_add_i32 s38, s38, 1
	s_cmpk_lg_i32 s38, 0x2710
	s_cselect_b64 s[34:35], -1, 0
	s_and_b64 vcc, exec, s[34:35]
	s_cbranch_vccz .LBB4_534
; %bb.533:                              ;   in Loop: Header=BB4_532 Depth=3
	s_mov_b64 vcc, -1
	s_or_b64 s[30:31], s[30:31], exec
	s_and_saveexec_b64 s[36:37], s[34:35]
	s_cbranch_execz .LBB4_531
	s_branch .LBB4_535
.LBB4_534:                              ;   in Loop: Header=BB4_532 Depth=3
	s_trap 2
	ds_read_b64 v[4:5], v0
	s_andn2_b64 s[34:35], s[34:35], exec
	s_mov_b32 s38, 0
	s_waitcnt lgkmcnt(0)
	flat_load_dword v0, v[4:5] glc
	s_waitcnt vmcnt(0) lgkmcnt(0)
	buffer_wbinvl1_vol
	v_cmp_eq_u32_e32 vcc, 0, v0
	s_and_b64 vcc, vcc, exec
	s_or_b64 s[34:35], s[34:35], vcc
	s_mov_b64 vcc, -1
	s_or_b64 s[30:31], s[30:31], exec
	s_and_saveexec_b64 s[36:37], s[34:35]
	s_cbranch_execz .LBB4_531
.LBB4_535:                              ;   in Loop: Header=BB4_532 Depth=3
	s_sleep 1
	s_trap 2
	ds_read_b64 v[4:5], v0
	s_waitcnt lgkmcnt(0)
	s_andn2_b64 s[30:31], s[30:31], exec
	v_cmp_ge_u64_e32 vcc, v[4:5], v[12:13]
	s_orn2_b64 vcc, vcc, exec
	s_branch .LBB4_531
.LBB4_536:                              ;   in Loop: Header=BB4_496 Depth=2
	s_or_b64 exec, exec, s[92:93]
	s_and_saveexec_b64 s[92:93], s[94:95]
	s_xor_b64 s[92:93], exec, s[92:93]
	s_cbranch_execz .LBB4_538
; %bb.537:                              ;   in Loop: Header=BB4_496 Depth=2
	ds_write_b32 v0, v24
	s_trap 2
.LBB4_538:                              ;   in Loop: Header=BB4_496 Depth=2
	s_or_b64 exec, exec, s[90:91]
	;;#ASMSTART
	s_wakeup
	;;#ASMEND
.LBB4_539:                              ;   in Loop: Header=BB4_496 Depth=2
	s_or_b64 exec, exec, s[42:43]
.LBB4_540:                              ;   in Loop: Header=BB4_496 Depth=2
	s_andn2_saveexec_b64 s[40:41], s[40:41]
	s_cbranch_execz .LBB4_542
; %bb.541:                              ;   in Loop: Header=BB4_496 Depth=2
	s_waitcnt vmcnt(0) lgkmcnt(0)
	buffer_wbinvl1_vol
	s_barrier
.LBB4_542:                              ;   in Loop: Header=BB4_496 Depth=2
	s_or_b64 exec, exec, s[40:41]
.LBB4_543:                              ;   in Loop: Header=BB4_496 Depth=2
	s_or_b64 exec, exec, s[28:29]
	s_trap 2
	ds_read_b32 v0, v0
	v_and_b32_e32 v4, 0x4000, v59
	v_cmp_ne_u32_e32 vcc, 0, v4
	s_xor_b64 s[28:29], s[6:7], -1
	s_and_b64 s[40:41], s[28:29], vcc
	s_and_saveexec_b64 s[28:29], s[40:41]
	s_cbranch_execz .LBB4_562
; %bb.544:                              ;   in Loop: Header=BB4_496 Depth=2
	s_and_saveexec_b64 s[40:41], s[56:57]
	s_xor_b64 s[40:41], exec, s[40:41]
	s_cbranch_execz .LBB4_559
; %bb.545:                              ;   in Loop: Header=BB4_496 Depth=2
	s_and_saveexec_b64 s[42:43], s[16:17]
	s_cbranch_execz .LBB4_558
; %bb.546:                              ;   in Loop: Header=BB4_496 Depth=2
	s_mov_b64 s[92:93], exec
	v_mbcnt_lo_u32_b32 v4, s92, 0
	v_mbcnt_hi_u32_b32 v4, s93, v4
	v_cmp_eq_u32_e32 vcc, 0, v4
	s_waitcnt vmcnt(0) lgkmcnt(0)
	buffer_wbinvl1_vol
	s_and_saveexec_b64 s[90:91], vcc
	s_cbranch_execz .LBB4_548
; %bb.547:                              ;   in Loop: Header=BB4_496 Depth=2
	s_bcnt1_i32_b64 s92, s[92:93]
	v_mov_b32_e32 v4, s92
	v_mov_b32_e32 v5, v2
	ds_add_u64 v0, v[4:5]
	s_trap 2
.LBB4_548:                              ;   in Loop: Header=BB4_496 Depth=2
	s_or_b64 exec, exec, s[90:91]
	s_trap 2
	ds_read_b64 v[4:5], v0
	s_waitcnt lgkmcnt(0)
	v_add_co_u32_e32 v12, vcc, v12, v61
	v_addc_co_u32_e32 v13, vcc, 0, v13, vcc
	v_cmp_lt_u64_e32 vcc, v[4:5], v[12:13]
	s_and_saveexec_b64 s[90:91], vcc
	s_cbranch_execz .LBB4_557
; %bb.549:                              ;   in Loop: Header=BB4_496 Depth=2
	s_mov_b32 s38, 0
	s_mov_b64 s[92:93], 0
                                        ; implicit-def: $sgpr94_sgpr95
                                        ; implicit-def: $sgpr30_sgpr31
	s_branch .LBB4_551
.LBB4_550:                              ;   in Loop: Header=BB4_551 Depth=3
	s_or_b64 exec, exec, s[36:37]
	s_and_b64 vcc, exec, vcc
	s_or_b64 s[92:93], vcc, s[92:93]
	s_andn2_b64 s[94:95], s[94:95], exec
	s_and_b64 vcc, s[30:31], exec
	s_or_b64 s[94:95], s[94:95], vcc
	s_andn2_b64 exec, exec, s[92:93]
	s_cbranch_execz .LBB4_555
.LBB4_551:                              ;   Parent Loop BB4_47 Depth=1
                                        ;     Parent Loop BB4_496 Depth=2
                                        ; =>    This Inner Loop Header: Depth=3
	s_add_i32 s38, s38, 1
	s_cmpk_lg_i32 s38, 0x2710
	s_cselect_b64 s[34:35], -1, 0
	s_and_b64 vcc, exec, s[34:35]
	s_cbranch_vccz .LBB4_553
; %bb.552:                              ;   in Loop: Header=BB4_551 Depth=3
	s_mov_b64 vcc, -1
	s_or_b64 s[30:31], s[30:31], exec
	s_and_saveexec_b64 s[36:37], s[34:35]
	s_cbranch_execz .LBB4_550
	s_branch .LBB4_554
.LBB4_553:                              ;   in Loop: Header=BB4_551 Depth=3
	s_trap 2
	ds_read_b64 v[4:5], v0
	s_andn2_b64 s[34:35], s[34:35], exec
	s_mov_b32 s38, 0
	s_waitcnt lgkmcnt(0)
	flat_load_dword v4, v[4:5] glc
	s_waitcnt vmcnt(0) lgkmcnt(0)
	buffer_wbinvl1_vol
	v_cmp_eq_u32_e32 vcc, 0, v4
	s_and_b64 vcc, vcc, exec
	s_or_b64 s[34:35], s[34:35], vcc
	s_mov_b64 vcc, -1
	s_or_b64 s[30:31], s[30:31], exec
	s_and_saveexec_b64 s[36:37], s[34:35]
	s_cbranch_execz .LBB4_550
.LBB4_554:                              ;   in Loop: Header=BB4_551 Depth=3
	s_sleep 1
	s_trap 2
	ds_read_b64 v[4:5], v0
	s_waitcnt lgkmcnt(0)
	s_andn2_b64 s[30:31], s[30:31], exec
	v_cmp_ge_u64_e32 vcc, v[4:5], v[12:13]
	s_orn2_b64 vcc, vcc, exec
	s_branch .LBB4_550
.LBB4_555:                              ;   in Loop: Header=BB4_496 Depth=2
	s_or_b64 exec, exec, s[92:93]
	s_and_saveexec_b64 s[92:93], s[94:95]
	s_xor_b64 s[92:93], exec, s[92:93]
	s_cbranch_execz .LBB4_557
; %bb.556:                              ;   in Loop: Header=BB4_496 Depth=2
	ds_write_b32 v0, v24
	s_trap 2
.LBB4_557:                              ;   in Loop: Header=BB4_496 Depth=2
	s_or_b64 exec, exec, s[90:91]
	;;#ASMSTART
	s_wakeup
	;;#ASMEND
.LBB4_558:                              ;   in Loop: Header=BB4_496 Depth=2
	s_or_b64 exec, exec, s[42:43]
.LBB4_559:                              ;   in Loop: Header=BB4_496 Depth=2
	s_andn2_saveexec_b64 s[40:41], s[40:41]
	s_cbranch_execz .LBB4_561
; %bb.560:                              ;   in Loop: Header=BB4_496 Depth=2
	s_waitcnt vmcnt(0) lgkmcnt(0)
	buffer_wbinvl1_vol
	s_barrier
.LBB4_561:                              ;   in Loop: Header=BB4_496 Depth=2
	s_or_b64 exec, exec, s[40:41]
.LBB4_562:                              ;   in Loop: Header=BB4_496 Depth=2
	s_or_b64 exec, exec, s[28:29]
	s_trap 2
	s_waitcnt lgkmcnt(0)
	ds_read_b64 v[53:54], v0
	s_waitcnt lgkmcnt(0)
	v_cmp_eq_u64_e32 vcc, 0, v[53:54]
	s_cbranch_vccnz .LBB4_571
; %bb.563:                              ;   in Loop: Header=BB4_496 Depth=2
	s_trap 2
	s_waitcnt vmcnt(0)
	ds_read_b64 v[40:41], v0
	s_waitcnt lgkmcnt(0)
	v_cmp_eq_u64_e32 vcc, 0, v[40:41]
	s_cbranch_vccnz .LBB4_571
; %bb.564:                              ;   in Loop: Header=BB4_496 Depth=2
	s_trap 2
	ds_read_b64 v[31:32], v0
	v_cmp_eq_u32_e32 vcc, 0, v0
	v_cndmask_b32_e32 v51, 0, v50, vcc
	v_lshlrev_b32_e32 v55, 2, v51
	s_waitcnt lgkmcnt(0)
	v_cmp_ne_u64_e32 vcc, 0, v[31:32]
	s_cbranch_vccz .LBB4_576
; %bb.565:                              ;   in Loop: Header=BB4_496 Depth=2
	s_mov_b64 s[40:41], -1
	s_and_saveexec_b64 s[28:29], s[22:23]
	s_cbranch_execz .LBB4_567
; %bb.566:                              ;   in Loop: Header=BB4_496 Depth=2
	ds_read_b32 v0, v0 offset:720
	s_waitcnt lgkmcnt(0)
	v_and_b32_e32 v0, 15, v0
	v_cmp_eq_u32_e32 vcc, 0, v0
	s_orn2_b64 s[40:41], vcc, exec
.LBB4_567:                              ;   in Loop: Header=BB4_496 Depth=2
	s_or_b64 exec, exec, s[28:29]
	s_and_saveexec_b64 s[28:29], s[22:23]
	s_cbranch_execz .LBB4_569
; %bb.568:                              ;   in Loop: Header=BB4_496 Depth=2
	ds_read_b32 v0, v0 offset:784
	s_waitcnt lgkmcnt(0)
	v_and_b32_e32 v0, 15, v0
	v_cmp_eq_u32_e32 vcc, 0, v0
	s_and_b64 s[42:43], s[40:41], vcc
	s_andn2_b64 s[40:41], s[40:41], exec
	s_and_b64 s[42:43], s[42:43], exec
	s_or_b64 s[40:41], s[40:41], s[42:43]
.LBB4_569:                              ;   in Loop: Header=BB4_496 Depth=2
	s_or_b64 exec, exec, s[28:29]
	buffer_load_dword v8, off, s[0:3], s33 offset:104 ; 4-byte Folded Reload
	s_xor_b64 s[40:41], s[40:41], -1
	v_cndmask_b32_e64 v0, 0, 1, s[40:41]
	s_mov_b64 s[28:29], -1
	v_mov_b32_e32 v38, 0
	v_cmp_ne_u32_e32 vcc, 0, v0
	v_mov_b32_e32 v39, v55
	v_mov_b32_e32 v0, v58
	s_cbranch_vccz .LBB4_578
; %bb.570:                              ;   in Loop: Header=BB4_496 Depth=2
	s_and_saveexec_b64 s[42:43], s[28:29]
	s_cbranch_execnz .LBB4_593
	s_branch .LBB4_603
.LBB4_571:                              ;   in Loop: Header=BB4_496 Depth=2
	s_mov_b64 s[28:29], 0
	s_and_saveexec_b64 s[40:41], s[10:11]
	s_cbranch_execnz .LBB4_632
.LBB4_572:                              ;   in Loop: Header=BB4_496 Depth=2
	s_or_b64 exec, exec, s[40:41]
                                        ; implicit-def: $vgpr0
	s_and_saveexec_b64 s[40:41], s[24:25]
	s_xor_b64 s[40:41], exec, s[40:41]
	s_cbranch_execz .LBB4_650
.LBB4_573:                              ;   in Loop: Header=BB4_496 Depth=2
	v_and_b32_e32 v4, 16, v59
	v_cmp_ne_u32_e32 vcc, 0, v4
	v_and_b32_e32 v0, 16, v59
	s_and_b64 s[42:43], vcc, s[28:29]
	s_and_saveexec_b64 s[28:29], s[42:43]
	s_cbranch_execz .LBB4_575
; %bb.574:                              ;   in Loop: Header=BB4_496 Depth=2
	v_mov_b32_e32 v0, 1
	s_waitcnt vmcnt(0) lgkmcnt(0)
	buffer_wbinvl1_vol
.LBB4_575:                              ;   in Loop: Header=BB4_496 Depth=2
	s_or_b64 exec, exec, s[28:29]
	s_andn2_saveexec_b64 s[28:29], s[40:41]
	s_cbranch_execz .LBB4_669
	s_branch .LBB4_651
.LBB4_576:                              ;   in Loop: Header=BB4_496 Depth=2
	buffer_load_dword v32, off, s[0:3], s33 offset:104 ; 4-byte Folded Reload
	v_mov_b32_e32 v31, 0x90
	s_cbranch_execnz .LBB4_604
.LBB4_577:                              ;   in Loop: Header=BB4_496 Depth=2
	v_cmp_lt_i32_e64 s[28:29], 0, v51
	s_and_saveexec_b64 s[40:41], s[10:11]
	s_cbranch_execnz .LBB4_632
	s_branch .LBB4_572
.LBB4_578:                              ;   in Loop: Header=BB4_496 Depth=2
	buffer_load_dword v4, off, s[0:3], s33 offset:104 ; 4-byte Folded Reload
	v_ashrrev_i32_e32 v0, 31, v55
	v_lshrrev_b32_e32 v0, 21, v0
	v_add_u32_e32 v0, v55, v0
	v_ashrrev_i32_e32 v0, 11, v0
	s_waitcnt vmcnt(0)
	v_sub_u32_e32 v34, v0, v4
	v_cmp_lt_i32_e32 vcc, 0, v34
	s_and_saveexec_b64 s[28:29], vcc
	s_cbranch_execz .LBB4_582
; %bb.579:                              ;   in Loop: Header=BB4_496 Depth=2
	buffer_load_dword v6, off, s[0:3], s33 offset:124 ; 4-byte Folded Reload
	buffer_load_dword v7, off, s[0:3], s33 offset:128 ; 4-byte Folded Reload
	s_mov_b64 s[40:41], 0
	s_waitcnt vmcnt(1)
	v_add_co_u32_e32 v8, vcc, v40, v6
	buffer_store_dword v40, off, s[0:3], s33 offset:168 ; 4-byte Folded Spill
	s_nop 0
	buffer_store_dword v41, off, s[0:3], s33 offset:172 ; 4-byte Folded Spill
	s_trap 2
	ds_read_b64 v[4:5], v0
	s_waitcnt vmcnt(2)
	v_addc_co_u32_e32 v9, vcc, v41, v7, vcc
	v_add_co_u32_e32 v10, vcc, v31, v6
	v_addc_co_u32_e32 v11, vcc, v32, v7, vcc
	v_add_co_u32_e32 v46, vcc, v53, v6
	v_addc_co_u32_e32 v47, vcc, v54, v7, vcc
	s_waitcnt lgkmcnt(0)
	v_add_co_u32_e32 v56, vcc, v4, v6
	v_addc_co_u32_e32 v57, vcc, v5, v7, vcc
.LBB4_580:                              ;   Parent Loop BB4_47 Depth=1
                                        ;     Parent Loop BB4_496 Depth=2
                                        ; =>    This Inner Loop Header: Depth=3
	global_load_dwordx4 v[4:7], v[56:57], off glc slc
	global_load_dwordx4 v[16:19], v[46:47], off glc slc
	global_load_dwordx4 v[42:45], v[46:47], off offset:1024 glc slc
	global_load_dwordx4 v[38:41], v[56:57], off offset:1024 glc slc
	v_add_co_u32_e32 v46, vcc, v46, v28
	v_addc_co_u32_e32 v47, vcc, 0, v47, vcc
	v_add_co_u32_e32 v56, vcc, v56, v28
	v_addc_co_u32_e32 v57, vcc, 0, v57, vcc
	v_sub_u32_e32 v34, v34, v61
	v_cmp_gt_i32_e32 vcc, 1, v34
	s_or_b64 s[40:41], vcc, s[40:41]
	s_waitcnt vmcnt(2)
	v_mul_f32_e32 v4, v16, v4
	v_mul_f32_e32 v5, v17, v5
	;; [unrolled: 1-line block ×4, first 2 shown]
	s_waitcnt vmcnt(0)
	v_mul_f32_e32 v16, v42, v38
	v_mul_f32_e32 v17, v43, v39
	;; [unrolled: 1-line block ×4, first 2 shown]
	global_store_dwordx4 v[8:9], v[4:7], off glc slc
	global_store_dwordx4 v[8:9], v[16:19], off offset:1024 glc slc
	global_store_dwordx4 v[10:11], v[4:7], off glc slc
	global_store_dwordx4 v[10:11], v[16:19], off offset:1024 glc slc
	v_add_co_u32_e32 v8, vcc, v8, v28
	v_addc_co_u32_e32 v9, vcc, 0, v9, vcc
	v_add_co_u32_e32 v10, vcc, v10, v28
	v_addc_co_u32_e32 v11, vcc, 0, v11, vcc
	s_andn2_b64 exec, exec, s[40:41]
	s_cbranch_execnz .LBB4_580
; %bb.581:                              ;   in Loop: Header=BB4_496 Depth=2
	s_or_b64 exec, exec, s[40:41]
	buffer_load_dword v42, off, s[0:3], s33 offset:60 ; 4-byte Folded Reload
	buffer_load_dword v43, off, s[0:3], s33 offset:64 ; 4-byte Folded Reload
	;; [unrolled: 1-line block ×13, first 2 shown]
	v_add_u32_e32 v47, 0xffffff00, v15
.LBB4_582:                              ;   in Loop: Header=BB4_496 Depth=2
	s_or_b64 exec, exec, s[28:29]
	v_lshlrev_b32_e32 v58, 11, v0
	v_cmp_ne_u32_e32 vcc, v55, v58
	s_mov_b64 s[28:29], 0
	v_mov_b32_e32 v38, 0
                                        ; implicit-def: $vgpr39
                                        ; implicit-def: $vgpr0
                                        ; implicit-def: $vgpr8
	s_and_saveexec_b64 s[90:91], vcc
	s_cbranch_execz .LBB4_592
; %bb.583:                              ;   in Loop: Header=BB4_496 Depth=2
	buffer_load_dword v5, off, s[0:3], s33 offset:100 ; 4-byte Folded Reload
	v_lshlrev_b32_e32 v0, 6, v34
	v_sub_u32_e32 v4, v55, v58
	s_waitcnt vmcnt(0)
	v_sub_u32_e32 v0, v5, v0
	v_ashrrev_i32_e32 v5, 31, v0
	v_lshrrev_b32_e32 v5, 26, v5
	v_add_u32_e32 v5, v0, v5
	v_ashrrev_i32_e32 v6, 6, v5
	v_and_b32_e32 v5, 0xffffffc0, v5
	v_sub_u32_e32 v44, v0, v5
	v_ashrrev_i32_e32 v5, 31, v4
	v_lshrrev_b32_e32 v5, 22, v5
	v_add_u32_e32 v5, v4, v5
	v_and_b32_e32 v45, 0xfffffc00, v5
	v_lshlrev_b32_e32 v0, 4, v44
	v_ashrrev_i32_e32 v7, 10, v5
	v_sub_u32_e32 v5, v4, v45
	v_lshl_add_u32 v8, v6, 10, v0
	v_cmp_lt_i32_e64 s[28:29], 15, v5
	v_sub_u32_e32 v0, v4, v8
	v_addc_co_u32_e64 v4, vcc, 0, v7, s[28:29]
	v_sub_u32_e32 v34, v4, v6
	v_cmp_lt_i32_e32 vcc, 15, v0
	s_and_saveexec_b64 s[92:93], vcc
	s_cbranch_execz .LBB4_589
; %bb.584:                              ;   in Loop: Header=BB4_496 Depth=2
	v_add_u32_e32 v6, v8, v58
	v_ashrrev_i32_e32 v7, 31, v6
	v_add_co_u32_e32 v38, vcc, v6, v40
	buffer_store_dword v5, off, s[0:3], s33 offset:168 ; 4-byte Folded Spill
	v_addc_co_u32_e32 v39, vcc, v7, v41, vcc
	s_trap 2
	ds_read_b64 v[4:5], v0
	v_add_co_u32_e32 v35, vcc, v6, v31
	v_mov_b32_e32 v48, v51
	v_addc_co_u32_e32 v51, vcc, v7, v32, vcc
	v_add_co_u32_e32 v46, vcc, v6, v53
	v_addc_co_u32_e32 v47, vcc, v7, v54, vcc
	s_waitcnt lgkmcnt(0)
	v_add_co_u32_e32 v56, vcc, v4, v6
	v_addc_co_u32_e32 v57, vcc, v5, v7, vcc
	s_mov_b64 s[94:95], 0
.LBB4_585:                              ;   Parent Loop BB4_47 Depth=1
                                        ;     Parent Loop BB4_496 Depth=2
                                        ; =>    This Loop Header: Depth=3
                                        ;         Child Loop BB4_586 Depth 4
	global_load_dwordx4 v[4:7], v[46:47], off glc slc
	global_load_dwordx4 v[8:11], v[56:57], off glc slc
	s_mov_b64 s[30:31], -1
	s_mov_b64 s[34:35], 0
	s_waitcnt vmcnt(0)
	v_mul_f32_e32 v8, v4, v8
	v_mul_f32_e32 v9, v5, v9
	;; [unrolled: 1-line block ×4, first 2 shown]
.LBB4_586:                              ;   Parent Loop BB4_47 Depth=1
                                        ;     Parent Loop BB4_496 Depth=2
                                        ;       Parent Loop BB4_585 Depth=3
                                        ; =>      This Inner Loop Header: Depth=4
	s_cmp_eq_u32 s34, 1
	s_cselect_b64 s[40:41], -1, 0
	v_cndmask_b32_e64 v5, v39, v51, s[40:41]
	v_cndmask_b32_e64 v4, v38, v35, s[40:41]
	global_store_dwordx4 v[4:5], v[8:11], off glc slc
	v_add_co_u32_e32 v4, vcc, 0x400, v4
	s_cmp_eq_u32 s34, 0
	v_addc_co_u32_e32 v5, vcc, 0, v5, vcc
	s_cselect_b64 vcc, -1, 0
	s_and_b64 s[42:43], exec, s[30:31]
	s_mov_b64 s[34:35], 1
	v_cndmask_b32_e64 v35, v35, v4, s[40:41]
	s_mov_b64 s[30:31], 0
	v_cndmask_b32_e64 v51, v51, v5, s[40:41]
	v_cndmask_b32_e32 v39, v39, v5, vcc
	v_cndmask_b32_e32 v38, v38, v4, vcc
	s_mov_b64 vcc, s[42:43]
	s_cbranch_vccnz .LBB4_586
; %bb.587:                              ;   in Loop: Header=BB4_585 Depth=3
	buffer_load_dword v4, off, s[0:3], s33 offset:76 ; 4-byte Folded Reload
	v_add_co_u32_e32 v46, vcc, v46, v19
	v_sub_u32_e32 v0, v0, v14
	v_sub_u32_e32 v34, v34, v61
	s_waitcnt vmcnt(0)
	v_addc_co_u32_e32 v47, vcc, v47, v4, vcc
	v_add_co_u32_e32 v56, vcc, v56, v19
	v_addc_co_u32_e32 v57, vcc, v57, v4, vcc
	v_add_co_u32_e32 v38, vcc, v38, v25
	;; [unrolled: 2-line block ×3, first 2 shown]
	v_addc_co_u32_e32 v51, vcc, v51, v18, vcc
	v_cmp_gt_i32_e32 vcc, 16, v0
	s_or_b64 s[94:95], vcc, s[94:95]
	s_andn2_b64 exec, exec, s[94:95]
	s_cbranch_execnz .LBB4_585
; %bb.588:                              ;   in Loop: Header=BB4_496 Depth=2
	s_or_b64 exec, exec, s[94:95]
	buffer_load_dword v56, off, s[0:3], s33 offset:140 ; 4-byte Folded Reload
	buffer_load_dword v57, off, s[0:3], s33 offset:144 ; 4-byte Folded Reload
	;; [unrolled: 1-line block ×4, first 2 shown]
	v_add_u32_e32 v47, 0xffffff00, v15
	v_mov_b32_e32 v51, v48
.LBB4_589:                              ;   in Loop: Header=BB4_496 Depth=2
	s_or_b64 exec, exec, s[92:93]
	v_and_b32_e32 v9, 12, v55
	s_waitcnt vmcnt(0)
	v_cndmask_b32_e64 v39, v5, v9, s[28:29]
	v_mov_b32_e32 v38, 0
	v_cmp_ne_u32_e32 vcc, 0, v39
	s_mov_b64 s[42:43], 0
                                        ; implicit-def: $vgpr0
                                        ; implicit-def: $vgpr8
	s_and_saveexec_b64 s[40:41], vcc
	s_cbranch_execz .LBB4_591
; %bb.590:                              ;   in Loop: Header=BB4_496 Depth=2
	v_sub_u32_e32 v0, v5, v9
	v_cndmask_b32_e64 v0, 0, v0, s[28:29]
	v_cmp_lt_i32_e32 vcc, 0, v34
	v_add3_u32 v38, v45, v58, v0
	v_cndmask_b32_e32 v0, 0, v61, vcc
	v_sub_u32_e32 v0, v0, v34
	v_lshl_add_u32 v0, v0, 6, v44
	v_ashrrev_i32_e32 v4, 31, v0
	v_lshrrev_b32_e32 v4, 26, v4
	v_add_u32_e32 v4, v0, v4
	v_ashrrev_i32_e32 v8, 6, v4
	s_mov_b64 s[42:43], exec
.LBB4_591:                              ;   in Loop: Header=BB4_496 Depth=2
	s_or_b64 exec, exec, s[40:41]
	s_and_b64 s[28:29], s[42:43], exec
.LBB4_592:                              ;   in Loop: Header=BB4_496 Depth=2
	s_or_b64 exec, exec, s[90:91]
	buffer_load_dword v58, off, s[0:3], s33 offset:156 ; 4-byte Folded Reload
	s_and_saveexec_b64 s[42:43], s[28:29]
	s_cbranch_execz .LBB4_603
.LBB4_593:                              ;   in Loop: Header=BB4_496 Depth=2
	v_ashrrev_i32_e32 v4, 31, v39
	v_lshrrev_b32_e32 v4, 22, v4
	v_add_u32_e32 v4, v39, v4
	v_mov_b32_e32 v48, v51
	v_ashrrev_i32_e32 v51, 10, v4
	s_waitcnt vmcnt(0)
	v_sub_u32_e32 v34, v51, v8
	v_ashrrev_i32_e32 v4, 31, v0
	v_cmp_lt_i32_e32 vcc, 0, v34
	v_lshrrev_b32_e32 v35, 26, v4
	s_and_saveexec_b64 s[28:29], vcc
	s_cbranch_execz .LBB4_597
; %bb.594:                              ;   in Loop: Header=BB4_496 Depth=2
	v_add_u32_e32 v4, v0, v35
	v_and_b32_e32 v4, 0x3fffffc0, v4
	v_sub_u32_e32 v4, v0, v4
	v_lshlrev_b32_e32 v4, 2, v4
	v_lshlrev_b32_e32 v5, 10, v8
	v_add3_u32 v6, v4, v38, v5
	v_ashrrev_i32_e32 v7, 31, v6
	v_add_co_u32_e32 v8, vcc, v6, v40
	v_addc_co_u32_e32 v9, vcc, v7, v41, vcc
	s_trap 2
	ds_read_b64 v[4:5], v0
	v_add_co_u32_e32 v10, vcc, v6, v31
	v_addc_co_u32_e32 v11, vcc, v7, v32, vcc
	v_add_co_u32_e32 v46, vcc, v6, v53
	v_addc_co_u32_e32 v47, vcc, v7, v54, vcc
	s_waitcnt lgkmcnt(0)
	v_add_co_u32_e32 v56, vcc, v4, v6
	v_addc_co_u32_e32 v57, vcc, v5, v7, vcc
	s_mov_b64 s[40:41], 0
.LBB4_595:                              ;   Parent Loop BB4_47 Depth=1
                                        ;     Parent Loop BB4_496 Depth=2
                                        ; =>    This Inner Loop Header: Depth=3
	flat_load_dword v4, v[46:47] glc slc
	flat_load_dword v5, v[46:47] offset:256 glc slc
	flat_load_dword v6, v[46:47] offset:512 glc slc
	;; [unrolled: 1-line block ×3, first 2 shown]
	flat_load_dword v16, v[56:57] glc slc
	flat_load_dword v17, v[56:57] offset:256 glc slc
	flat_load_dword v18, v[56:57] offset:512 glc slc
	;; [unrolled: 1-line block ×3, first 2 shown]
	v_add_co_u32_e32 v46, vcc, v46, v14
	v_addc_co_u32_e32 v47, vcc, 0, v47, vcc
	v_add_co_u32_e32 v56, vcc, v56, v14
	v_addc_co_u32_e32 v57, vcc, 0, v57, vcc
	v_sub_u32_e32 v34, v34, v61
	v_cmp_gt_i32_e32 vcc, 1, v34
	s_or_b64 s[40:41], vcc, s[40:41]
	s_waitcnt vmcnt(0) lgkmcnt(0)
	v_mul_f32_e32 v4, v4, v16
	v_mul_f32_e32 v5, v5, v17
	;; [unrolled: 1-line block ×4, first 2 shown]
	flat_store_dword v[8:9], v4 glc slc
	flat_store_dword v[8:9], v5 offset:256 glc slc
	flat_store_dword v[8:9], v6 offset:512 glc slc
	;; [unrolled: 1-line block ×3, first 2 shown]
	flat_store_dword v[10:11], v4 glc slc
	flat_store_dword v[10:11], v5 offset:256 glc slc
	flat_store_dword v[10:11], v6 offset:512 glc slc
	;; [unrolled: 1-line block ×3, first 2 shown]
	v_add_co_u32_e32 v8, vcc, v8, v14
	v_addc_co_u32_e32 v9, vcc, 0, v9, vcc
	v_add_co_u32_e32 v10, vcc, v10, v14
	v_addc_co_u32_e32 v11, vcc, 0, v11, vcc
	s_andn2_b64 exec, exec, s[40:41]
	s_cbranch_execnz .LBB4_595
; %bb.596:                              ;   in Loop: Header=BB4_496 Depth=2
	s_or_b64 exec, exec, s[40:41]
	buffer_load_dword v56, off, s[0:3], s33 offset:140 ; 4-byte Folded Reload
	buffer_load_dword v57, off, s[0:3], s33 offset:144 ; 4-byte Folded Reload
	buffer_load_dword v18, off, s[0:3], s33 offset:80 ; 4-byte Folded Reload
	buffer_load_dword v46, off, s[0:3], s33 offset:88 ; 4-byte Folded Reload
	buffer_load_dword v19, off, s[0:3], s33 offset:84 ; 4-byte Folded Reload
	buffer_load_dword v16, off, s[0:3], s33 offset:160 ; 4-byte Folded Reload
	buffer_load_dword v17, off, s[0:3], s33 offset:164 ; 4-byte Folded Reload
	v_add_u32_e32 v47, 0xffffff00, v15
.LBB4_597:                              ;   in Loop: Header=BB4_496 Depth=2
	s_or_b64 exec, exec, s[28:29]
	v_lshlrev_b32_e32 v8, 10, v51
	v_cmp_ne_u32_e32 vcc, v39, v8
	s_and_b64 s[28:29], exec, vcc
	v_mov_b32_e32 v51, v48
	s_mov_b64 exec, s[28:29]
	s_cbranch_execz .LBB4_603
; %bb.598:                              ;   in Loop: Header=BB4_496 Depth=2
	v_add_u32_e32 v4, v0, v35
	v_and_b32_e32 v4, 0xffffffc0, v4
	v_sub_u32_e32 v0, v0, v4
	v_lshlrev_b32_e32 v4, 6, v34
	v_sub_u32_e32 v0, v0, v4
	v_ashrrev_i32_e32 v4, 31, v0
	v_lshrrev_b32_e32 v4, 26, v4
	v_add_u32_e32 v4, v0, v4
	v_and_b32_e32 v5, 0x3fffffc0, v4
	v_sub_u32_e32 v0, v0, v5
	v_lshlrev_b32_e32 v4, 2, v4
	v_and_b32_e32 v4, 0xffffff00, v4
	v_lshlrev_b32_e32 v0, 2, v0
	v_add3_u32 v8, v4, v0, v8
	v_sub_u32_e32 v0, v39, v8
	v_cmp_lt_i32_e32 vcc, 3, v0
	s_and_b64 exec, exec, vcc
	s_cbranch_execz .LBB4_603
; %bb.599:                              ;   in Loop: Header=BB4_496 Depth=2
	v_add_u32_e32 v6, v8, v38
	v_ashrrev_i32_e32 v7, 31, v6
	v_add_co_u32_e32 v34, vcc, v6, v40
	v_addc_co_u32_e32 v35, vcc, v7, v41, vcc
	s_trap 2
	ds_read_b64 v[4:5], v0
	v_add_co_u32_e32 v38, vcc, v6, v31
	v_addc_co_u32_e32 v39, vcc, v7, v32, vcc
	v_add_co_u32_e32 v8, vcc, v6, v53
	v_addc_co_u32_e32 v9, vcc, v7, v54, vcc
	s_waitcnt lgkmcnt(0)
	v_add_co_u32_e32 v10, vcc, v4, v6
	v_addc_co_u32_e32 v11, vcc, v5, v7, vcc
	s_mov_b64 s[90:91], 0
.LBB4_600:                              ;   Parent Loop BB4_47 Depth=1
                                        ;     Parent Loop BB4_496 Depth=2
                                        ; =>    This Loop Header: Depth=3
                                        ;         Child Loop BB4_601 Depth 4
	flat_load_dword v4, v[8:9] glc slc
	flat_load_dword v5, v[10:11] glc slc
	s_mov_b64 s[92:93], -1
	s_mov_b64 s[94:95], 0
	s_waitcnt vmcnt(0) lgkmcnt(0)
	v_mul_f32_e32 v48, v4, v5
.LBB4_601:                              ;   Parent Loop BB4_47 Depth=1
                                        ;     Parent Loop BB4_496 Depth=2
                                        ;       Parent Loop BB4_600 Depth=3
                                        ; =>      This Inner Loop Header: Depth=4
	s_cmp_eq_u32 s94, 1
	s_cselect_b64 s[28:29], -1, 0
	v_cndmask_b32_e64 v5, v35, v39, s[28:29]
	v_cndmask_b32_e64 v4, v34, v38, s[28:29]
	flat_store_dword v[4:5], v48 glc slc
	v_add_co_u32_e32 v4, vcc, 0x100, v4
	s_cmp_eq_u32 s94, 0
	v_addc_co_u32_e32 v5, vcc, 0, v5, vcc
	s_cselect_b64 vcc, -1, 0
	s_and_b64 s[40:41], exec, s[92:93]
	s_mov_b64 s[94:95], 1
	v_cndmask_b32_e64 v38, v38, v4, s[28:29]
	s_mov_b64 s[92:93], 0
	v_cndmask_b32_e64 v39, v39, v5, s[28:29]
	v_cndmask_b32_e32 v35, v35, v5, vcc
	v_cndmask_b32_e32 v34, v34, v4, vcc
	s_mov_b64 vcc, s[40:41]
	s_cbranch_vccnz .LBB4_601
; %bb.602:                              ;   in Loop: Header=BB4_600 Depth=3
	buffer_load_dword v4, off, s[0:3], s33 offset:92 ; 4-byte Folded Reload
	buffer_load_dword v5, off, s[0:3], s33 offset:96 ; 4-byte Folded Reload
	v_sub_u32_e32 v0, v0, v15
	s_waitcnt vmcnt(0)
	v_add_co_u32_e32 v8, vcc, v8, v4
	v_addc_co_u32_e32 v9, vcc, v9, v5, vcc
	v_add_co_u32_e32 v10, vcc, v10, v4
	v_addc_co_u32_e32 v11, vcc, v11, v5, vcc
	;; [unrolled: 2-line block ×3, first 2 shown]
	v_cmp_gt_i32_e32 vcc, 4, v0
	s_or_b64 s[90:91], vcc, s[90:91]
	v_add_co_u32_e32 v38, vcc, v38, v47
	v_addc_co_u32_e32 v39, vcc, v39, v46, vcc
	s_andn2_b64 exec, exec, s[90:91]
	s_cbranch_execnz .LBB4_600
.LBB4_603:                              ;   in Loop: Header=BB4_496 Depth=2
	s_or_b64 exec, exec, s[42:43]
	buffer_load_dword v32, off, s[0:3], s33 offset:104 ; 4-byte Folded Reload
	v_mov_b32_e32 v31, 0x90
	s_branch .LBB4_577
.LBB4_604:                              ;   in Loop: Header=BB4_496 Depth=2
	s_mov_b64 s[28:29], -1
	s_and_saveexec_b64 s[40:41], s[22:23]
	s_cbranch_execz .LBB4_606
; %bb.605:                              ;   in Loop: Header=BB4_496 Depth=2
	ds_read_b32 v0, v0 offset:720
	s_waitcnt lgkmcnt(0)
	v_and_b32_e32 v0, 15, v0
	v_cmp_eq_u32_e32 vcc, 0, v0
	s_orn2_b64 s[28:29], vcc, exec
.LBB4_606:                              ;   in Loop: Header=BB4_496 Depth=2
	s_or_b64 exec, exec, s[40:41]
	s_and_saveexec_b64 s[40:41], s[18:19]
	s_cbranch_execz .LBB4_608
; %bb.607:                              ;   in Loop: Header=BB4_496 Depth=2
	ds_read_b32 v0, v0 offset:784
	s_waitcnt lgkmcnt(0)
	v_and_b32_e32 v0, 15, v0
	v_cmp_eq_u32_e32 vcc, 0, v0
	s_and_b64 s[42:43], s[28:29], vcc
	s_andn2_b64 s[28:29], s[28:29], exec
	s_and_b64 s[42:43], s[42:43], exec
	s_or_b64 s[28:29], s[28:29], s[42:43]
.LBB4_608:                              ;   in Loop: Header=BB4_496 Depth=2
	s_or_b64 exec, exec, s[40:41]
	s_xor_b64 s[28:29], s[28:29], -1
	v_cndmask_b32_e64 v0, 0, 1, s[28:29]
	s_mov_b64 s[42:43], -1
	v_mov_b32_e32 v38, 0
	v_cmp_ne_u32_e32 vcc, 0, v0
	s_cbranch_vccz .LBB4_610
; %bb.609:                              ;   in Loop: Header=BB4_496 Depth=2
	s_waitcnt vmcnt(0)
	v_mov_b32_e32 v0, v58
	v_mov_b32_e32 v8, v32
	s_and_saveexec_b64 s[28:29], s[42:43]
	s_cbranch_execnz .LBB4_623
	s_branch .LBB4_631
.LBB4_610:                              ;   in Loop: Header=BB4_496 Depth=2
	v_ashrrev_i32_e32 v0, 31, v55
	v_lshrrev_b32_e32 v0, 21, v0
	v_add_u32_e32 v0, v55, v0
	v_ashrrev_i32_e32 v0, 11, v0
	s_waitcnt vmcnt(0)
	v_sub_u32_e32 v35, v0, v32
	v_cmp_lt_i32_e32 vcc, 0, v35
	s_and_saveexec_b64 s[28:29], vcc
	s_cbranch_execz .LBB4_614
; %bb.611:                              ;   in Loop: Header=BB4_496 Depth=2
	s_trap 2
	buffer_load_dword v6, off, s[0:3], s33 offset:124 ; 4-byte Folded Reload
	buffer_load_dword v7, off, s[0:3], s33 offset:128 ; 4-byte Folded Reload
	ds_read_b64 v[4:5], v0
	s_mov_b64 s[40:41], 0
	s_waitcnt vmcnt(0)
	v_add_co_u32_e32 v8, vcc, v53, v6
	v_addc_co_u32_e32 v9, vcc, v54, v7, vcc
	s_waitcnt lgkmcnt(0)
	v_add_co_u32_e32 v10, vcc, v4, v6
	v_addc_co_u32_e32 v11, vcc, v5, v7, vcc
	v_add_co_u32_e32 v44, vcc, v40, v6
	v_addc_co_u32_e32 v45, vcc, v41, v7, vcc
.LBB4_612:                              ;   Parent Loop BB4_47 Depth=1
                                        ;     Parent Loop BB4_496 Depth=2
                                        ; =>    This Inner Loop Header: Depth=3
	global_load_dwordx4 v[4:7], v[10:11], off glc slc
	global_load_dwordx4 v[16:19], v[8:9], off glc slc
	global_load_dwordx4 v[31:34], v[8:9], off offset:1024 glc slc
	global_load_dwordx4 v[46:49], v[10:11], off offset:1024 glc slc
	v_add_co_u32_e32 v8, vcc, v8, v28
	v_addc_co_u32_e32 v9, vcc, 0, v9, vcc
	v_add_co_u32_e32 v10, vcc, v10, v28
	v_addc_co_u32_e32 v11, vcc, 0, v11, vcc
	v_sub_u32_e32 v35, v35, v61
	v_cmp_gt_i32_e32 vcc, 1, v35
	s_or_b64 s[40:41], vcc, s[40:41]
	s_waitcnt vmcnt(2)
	v_mul_f32_e32 v4, v16, v4
	v_mul_f32_e32 v5, v17, v5
	;; [unrolled: 1-line block ×4, first 2 shown]
	s_waitcnt vmcnt(0)
	v_mul_f32_e32 v16, v31, v46
	v_mul_f32_e32 v17, v32, v47
	;; [unrolled: 1-line block ×4, first 2 shown]
	global_store_dwordx4 v[44:45], v[4:7], off glc slc
	global_store_dwordx4 v[44:45], v[16:19], off offset:1024 glc slc
	v_add_co_u32_e32 v44, vcc, v44, v28
	v_addc_co_u32_e32 v45, vcc, 0, v45, vcc
	s_andn2_b64 exec, exec, s[40:41]
	s_cbranch_execnz .LBB4_612
; %bb.613:                              ;   in Loop: Header=BB4_496 Depth=2
	s_or_b64 exec, exec, s[40:41]
	buffer_load_dword v42, off, s[0:3], s33 offset:60 ; 4-byte Folded Reload
	buffer_load_dword v43, off, s[0:3], s33 offset:64 ; 4-byte Folded Reload
	;; [unrolled: 1-line block ×10, first 2 shown]
	v_ashrrev_i32_e32 v33, 31, v60
	v_mov_b32_e32 v31, 0x90
	v_add_u32_e32 v47, 0xffffff00, v15
	v_ashrrev_i32_e32 v49, 31, v1
.LBB4_614:                              ;   in Loop: Header=BB4_496 Depth=2
	s_or_b64 exec, exec, s[28:29]
	v_lshlrev_b32_e32 v34, 11, v0
	v_cmp_ne_u32_e32 vcc, v55, v34
	s_mov_b64 s[42:43], 0
	v_mov_b32_e32 v38, 0
                                        ; implicit-def: $vgpr0
                                        ; implicit-def: $vgpr8
	s_and_saveexec_b64 s[40:41], vcc
	s_cbranch_execz .LBB4_622
; %bb.615:                              ;   in Loop: Header=BB4_496 Depth=2
	buffer_load_dword v5, off, s[0:3], s33 offset:100 ; 4-byte Folded Reload
	v_lshlrev_b32_e32 v0, 6, v35
	v_sub_u32_e32 v4, v55, v34
	s_waitcnt vmcnt(0)
	v_sub_u32_e32 v0, v5, v0
	v_ashrrev_i32_e32 v5, 31, v0
	v_lshrrev_b32_e32 v5, 26, v5
	v_add_u32_e32 v5, v0, v5
	v_ashrrev_i32_e32 v6, 6, v5
	v_and_b32_e32 v5, 0xffffffc0, v5
	v_sub_u32_e32 v35, v0, v5
	v_ashrrev_i32_e32 v5, 31, v4
	v_lshrrev_b32_e32 v5, 22, v5
	v_add_u32_e32 v5, v4, v5
	v_and_b32_e32 v39, 0xfffffc00, v5
	v_lshlrev_b32_e32 v0, 4, v35
	v_sub_u32_e32 v49, v4, v39
	v_lshl_add_u32 v8, v6, 10, v0
	v_ashrrev_i32_e32 v7, 10, v5
	v_cmp_lt_i32_e32 vcc, 15, v49
	v_sub_u32_e32 v0, v4, v8
	v_addc_co_u32_e64 v4, s[28:29], 0, v7, vcc
	v_sub_u32_e32 v48, v4, v6
	v_cmp_lt_i32_e64 s[28:29], 15, v0
	s_and_saveexec_b64 s[42:43], s[28:29]
	s_cbranch_execz .LBB4_619
; %bb.616:                              ;   in Loop: Header=BB4_496 Depth=2
	s_trap 2
	ds_read_b64 v[4:5], v0
	v_add_u32_e32 v6, v8, v34
	v_ashrrev_i32_e32 v7, 31, v6
	v_add_co_u32_e64 v8, s[28:29], v6, v53
	v_addc_co_u32_e64 v9, s[28:29], v7, v54, s[28:29]
	s_waitcnt lgkmcnt(0)
	v_add_co_u32_e64 v10, s[28:29], v4, v6
	v_addc_co_u32_e64 v11, s[28:29], v5, v7, s[28:29]
	v_add_co_u32_e64 v44, s[28:29], v6, v40
	v_addc_co_u32_e64 v45, s[28:29], v7, v41, s[28:29]
	s_mov_b64 s[90:91], 0
.LBB4_617:                              ;   Parent Loop BB4_47 Depth=1
                                        ;     Parent Loop BB4_496 Depth=2
                                        ; =>    This Inner Loop Header: Depth=3
	global_load_dwordx4 v[4:7], v[8:9], off glc slc
	global_load_dwordx4 v[16:19], v[10:11], off glc slc
	v_add_co_u32_e64 v8, s[28:29], v8, v14
	v_addc_co_u32_e64 v9, s[28:29], 0, v9, s[28:29]
	v_add_co_u32_e64 v10, s[28:29], v10, v14
	v_addc_co_u32_e64 v11, s[28:29], 0, v11, s[28:29]
	v_sub_u32_e32 v0, v0, v14
	v_cmp_gt_i32_e64 s[28:29], 16, v0
	s_or_b64 s[90:91], s[28:29], s[90:91]
	v_sub_u32_e32 v48, v48, v61
	s_waitcnt vmcnt(0)
	v_mul_f32_e32 v4, v4, v16
	v_mul_f32_e32 v5, v5, v17
	;; [unrolled: 1-line block ×4, first 2 shown]
	global_store_dwordx4 v[44:45], v[4:7], off glc slc
	v_add_co_u32_e64 v44, s[28:29], v44, v14
	v_addc_co_u32_e64 v45, s[28:29], 0, v45, s[28:29]
	s_andn2_b64 exec, exec, s[90:91]
	s_cbranch_execnz .LBB4_617
; %bb.618:                              ;   in Loop: Header=BB4_496 Depth=2
	s_or_b64 exec, exec, s[90:91]
	buffer_load_dword v42, off, s[0:3], s33 offset:60 ; 4-byte Folded Reload
	buffer_load_dword v43, off, s[0:3], s33 offset:64 ; 4-byte Folded Reload
	;; [unrolled: 1-line block ×8, first 2 shown]
.LBB4_619:                              ;   in Loop: Header=BB4_496 Depth=2
	s_or_b64 exec, exec, s[42:43]
	v_and_b32_e32 v9, 12, v55
	v_cndmask_b32_e32 v55, v49, v9, vcc
	v_mov_b32_e32 v38, 0
	v_cmp_ne_u32_e64 s[28:29], 0, v55
	s_mov_b64 s[90:91], 0
                                        ; implicit-def: $vgpr0
                                        ; implicit-def: $vgpr8
	s_and_saveexec_b64 s[42:43], s[28:29]
	s_cbranch_execz .LBB4_621
; %bb.620:                              ;   in Loop: Header=BB4_496 Depth=2
	v_sub_u32_e32 v0, v49, v9
	v_cndmask_b32_e32 v0, 0, v0, vcc
	v_cmp_lt_i32_e32 vcc, 0, v48
	v_add3_u32 v38, v39, v34, v0
	v_cndmask_b32_e32 v0, 0, v61, vcc
	v_sub_u32_e32 v0, v0, v48
	v_lshl_add_u32 v0, v0, 6, v35
	v_ashrrev_i32_e32 v4, 31, v0
	v_lshrrev_b32_e32 v4, 26, v4
	v_add_u32_e32 v4, v0, v4
	v_ashrrev_i32_e32 v8, 6, v4
	s_mov_b64 s[90:91], exec
.LBB4_621:                              ;   in Loop: Header=BB4_496 Depth=2
	s_or_b64 exec, exec, s[42:43]
	s_and_b64 s[42:43], s[90:91], exec
	v_ashrrev_i32_e32 v49, 31, v1
.LBB4_622:                              ;   in Loop: Header=BB4_496 Depth=2
	s_or_b64 exec, exec, s[40:41]
	s_and_saveexec_b64 s[28:29], s[42:43]
	s_cbranch_execz .LBB4_631
.LBB4_623:                              ;   in Loop: Header=BB4_496 Depth=2
	v_ashrrev_i32_e32 v4, 31, v55
	v_lshrrev_b32_e32 v4, 22, v4
	v_add_u32_e32 v4, v55, v4
	v_ashrrev_i32_e32 v35, 10, v4
	v_sub_u32_e32 v34, v35, v8
	v_cmp_lt_i32_e32 vcc, 0, v34
	s_and_saveexec_b64 s[40:41], vcc
	s_cbranch_execz .LBB4_627
; %bb.624:                              ;   in Loop: Header=BB4_496 Depth=2
	v_ashrrev_i32_e32 v4, 31, v0
	v_lshrrev_b32_e32 v4, 26, v4
	v_add_u32_e32 v4, v0, v4
	v_and_b32_e32 v4, 0x3fffffc0, v4
	v_sub_u32_e32 v4, v0, v4
	v_lshlrev_b32_e32 v4, 2, v4
	v_lshlrev_b32_e32 v5, 10, v8
	v_add3_u32 v6, v4, v38, v5
	s_trap 2
	ds_read_b64 v[4:5], v0
	v_ashrrev_i32_e32 v7, 31, v6
	v_add_co_u32_e32 v8, vcc, v6, v53
	v_addc_co_u32_e32 v9, vcc, v7, v54, vcc
	s_waitcnt lgkmcnt(0)
	v_add_co_u32_e32 v10, vcc, v4, v6
	v_addc_co_u32_e32 v11, vcc, v5, v7, vcc
	s_waitcnt vmcnt(5)
	v_add_co_u32_e32 v44, vcc, v6, v40
	s_waitcnt vmcnt(4)
	v_addc_co_u32_e32 v45, vcc, v7, v41, vcc
	s_mov_b64 s[42:43], 0
.LBB4_625:                              ;   Parent Loop BB4_47 Depth=1
                                        ;     Parent Loop BB4_496 Depth=2
                                        ; =>    This Inner Loop Header: Depth=3
	flat_load_dword v4, v[8:9] glc slc
	flat_load_dword v5, v[8:9] offset:256 glc slc
	flat_load_dword v6, v[8:9] offset:512 glc slc
	;; [unrolled: 1-line block ×3, first 2 shown]
	s_waitcnt vmcnt(0)
	flat_load_dword v16, v[10:11] glc slc
	flat_load_dword v17, v[10:11] offset:256 glc slc
	flat_load_dword v18, v[10:11] offset:512 glc slc
	;; [unrolled: 1-line block ×3, first 2 shown]
	v_add_co_u32_e32 v8, vcc, v8, v14
	v_addc_co_u32_e32 v9, vcc, 0, v9, vcc
	v_add_co_u32_e32 v10, vcc, v10, v14
	v_addc_co_u32_e32 v11, vcc, 0, v11, vcc
	v_sub_u32_e32 v34, v34, v61
	v_cmp_gt_i32_e32 vcc, 1, v34
	s_or_b64 s[42:43], vcc, s[42:43]
	s_waitcnt vmcnt(0) lgkmcnt(0)
	v_mul_f32_e32 v4, v4, v16
	v_mul_f32_e32 v5, v5, v17
	;; [unrolled: 1-line block ×4, first 2 shown]
	flat_store_dword v[44:45], v4 glc slc
	flat_store_dword v[44:45], v5 offset:256 glc slc
	flat_store_dword v[44:45], v6 offset:512 glc slc
	;; [unrolled: 1-line block ×3, first 2 shown]
	v_add_co_u32_e32 v44, vcc, v44, v14
	v_addc_co_u32_e32 v45, vcc, 0, v45, vcc
	s_andn2_b64 exec, exec, s[42:43]
	s_cbranch_execnz .LBB4_625
; %bb.626:                              ;   in Loop: Header=BB4_496 Depth=2
	s_or_b64 exec, exec, s[42:43]
	buffer_load_dword v42, off, s[0:3], s33 offset:60 ; 4-byte Folded Reload
	buffer_load_dword v43, off, s[0:3], s33 offset:64 ; 4-byte Folded Reload
	;; [unrolled: 1-line block ×8, first 2 shown]
.LBB4_627:                              ;   in Loop: Header=BB4_496 Depth=2
	s_or_b64 exec, exec, s[40:41]
	v_lshlrev_b32_e32 v8, 10, v35
	v_cmp_ne_u32_e32 vcc, v55, v8
	s_and_b64 exec, exec, vcc
	s_cbranch_execz .LBB4_631
; %bb.628:                              ;   in Loop: Header=BB4_496 Depth=2
	v_ashrrev_i32_e32 v4, 31, v0
	v_lshrrev_b32_e32 v4, 26, v4
	v_add_u32_e32 v4, v0, v4
	v_and_b32_e32 v4, 0xffffffc0, v4
	v_sub_u32_e32 v0, v0, v4
	v_lshlrev_b32_e32 v4, 6, v34
	v_sub_u32_e32 v0, v0, v4
	v_ashrrev_i32_e32 v4, 31, v0
	v_lshrrev_b32_e32 v4, 26, v4
	v_add_u32_e32 v4, v0, v4
	v_and_b32_e32 v5, 0x3fffffc0, v4
	v_sub_u32_e32 v0, v0, v5
	v_lshlrev_b32_e32 v4, 2, v4
	v_and_b32_e32 v4, 0xffffff00, v4
	v_lshlrev_b32_e32 v0, 2, v0
	v_add3_u32 v8, v4, v0, v8
	v_sub_u32_e32 v0, v55, v8
	v_cmp_lt_i32_e32 vcc, 3, v0
	s_and_b64 exec, exec, vcc
	s_cbranch_execz .LBB4_631
; %bb.629:                              ;   in Loop: Header=BB4_496 Depth=2
	s_trap 2
	ds_read_b64 v[4:5], v0
	v_add_u32_e32 v6, v8, v38
	v_ashrrev_i32_e32 v7, 31, v6
	v_add_co_u32_e32 v8, vcc, v6, v53
	v_addc_co_u32_e32 v9, vcc, v7, v54, vcc
	s_waitcnt lgkmcnt(0)
	v_add_co_u32_e32 v10, vcc, v4, v6
	v_addc_co_u32_e32 v11, vcc, v5, v7, vcc
	v_add_co_u32_e32 v40, vcc, v6, v40
	v_addc_co_u32_e32 v41, vcc, v7, v41, vcc
	s_mov_b64 s[40:41], 0
.LBB4_630:                              ;   Parent Loop BB4_47 Depth=1
                                        ;     Parent Loop BB4_496 Depth=2
                                        ; =>    This Inner Loop Header: Depth=3
	flat_load_dword v4, v[8:9] glc slc
	flat_load_dword v5, v[10:11] glc slc
	v_add_co_u32_e32 v8, vcc, v8, v15
	v_addc_co_u32_e32 v9, vcc, 0, v9, vcc
	v_add_co_u32_e32 v10, vcc, v10, v15
	v_addc_co_u32_e32 v11, vcc, 0, v11, vcc
	v_sub_u32_e32 v0, v0, v15
	v_cmp_gt_i32_e32 vcc, 4, v0
	s_or_b64 s[40:41], vcc, s[40:41]
	s_waitcnt vmcnt(0) lgkmcnt(0)
	v_mul_f32_e32 v4, v4, v5
	flat_store_dword v[40:41], v4 glc slc
	v_add_co_u32_e32 v40, vcc, v40, v15
	v_addc_co_u32_e32 v41, vcc, 0, v41, vcc
	s_andn2_b64 exec, exec, s[40:41]
	s_cbranch_execnz .LBB4_630
.LBB4_631:                              ;   in Loop: Header=BB4_496 Depth=2
	s_or_b64 exec, exec, s[28:29]
	v_cmp_lt_i32_e64 s[28:29], 0, v51
	s_and_saveexec_b64 s[40:41], s[10:11]
	s_cbranch_execz .LBB4_572
.LBB4_632:                              ;   in Loop: Header=BB4_496 Depth=2
	s_and_saveexec_b64 s[42:43], s[56:57]
	s_xor_b64 s[42:43], exec, s[42:43]
	s_cbranch_execz .LBB4_647
; %bb.633:                              ;   in Loop: Header=BB4_496 Depth=2
	s_and_saveexec_b64 s[90:91], s[16:17]
	s_cbranch_execz .LBB4_646
; %bb.634:                              ;   in Loop: Header=BB4_496 Depth=2
	s_mov_b64 s[94:95], exec
	v_mbcnt_lo_u32_b32 v0, s94, 0
	v_mbcnt_hi_u32_b32 v0, s95, v0
	v_cmp_eq_u32_e32 vcc, 0, v0
	s_waitcnt vmcnt(0) lgkmcnt(0)
	buffer_wbinvl1_vol
	s_and_saveexec_b64 s[92:93], vcc
	s_cbranch_execz .LBB4_636
; %bb.635:                              ;   in Loop: Header=BB4_496 Depth=2
	s_bcnt1_i32_b64 s94, s[94:95]
	v_mov_b32_e32 v4, s94
	v_mov_b32_e32 v5, v2
	ds_add_u64 v0, v[4:5]
	s_trap 2
.LBB4_636:                              ;   in Loop: Header=BB4_496 Depth=2
	s_or_b64 exec, exec, s[92:93]
	s_trap 2
	ds_read_b64 v[4:5], v0
	s_waitcnt lgkmcnt(0)
	v_add_co_u32_e32 v12, vcc, v12, v61
	v_addc_co_u32_e32 v13, vcc, 0, v13, vcc
	v_cmp_lt_u64_e32 vcc, v[4:5], v[12:13]
	s_and_saveexec_b64 s[92:93], vcc
	s_cbranch_execz .LBB4_645
; %bb.637:                              ;   in Loop: Header=BB4_496 Depth=2
	s_mov_b32 s48, 0
	s_mov_b64 s[94:95], 0
                                        ; implicit-def: $sgpr30_sgpr31
                                        ; implicit-def: $sgpr34_sgpr35
	s_branch .LBB4_639
.LBB4_638:                              ;   in Loop: Header=BB4_639 Depth=3
	s_or_b64 exec, exec, s[38:39]
	s_and_b64 vcc, exec, vcc
	s_or_b64 s[94:95], vcc, s[94:95]
	s_andn2_b64 vcc, s[30:31], exec
	s_and_b64 s[30:31], s[34:35], exec
	s_or_b64 s[30:31], vcc, s[30:31]
	s_andn2_b64 exec, exec, s[94:95]
	s_cbranch_execz .LBB4_643
.LBB4_639:                              ;   Parent Loop BB4_47 Depth=1
                                        ;     Parent Loop BB4_496 Depth=2
                                        ; =>    This Inner Loop Header: Depth=3
	s_add_i32 s48, s48, 1
	s_cmpk_lg_i32 s48, 0x2710
	s_cselect_b64 s[36:37], -1, 0
	s_and_b64 vcc, exec, s[36:37]
	s_cbranch_vccz .LBB4_641
; %bb.640:                              ;   in Loop: Header=BB4_639 Depth=3
	s_mov_b64 vcc, -1
	s_or_b64 s[34:35], s[34:35], exec
	s_and_saveexec_b64 s[38:39], s[36:37]
	s_cbranch_execz .LBB4_638
	s_branch .LBB4_642
.LBB4_641:                              ;   in Loop: Header=BB4_639 Depth=3
	s_trap 2
	ds_read_b64 v[4:5], v0
	s_andn2_b64 s[36:37], s[36:37], exec
	s_mov_b32 s48, 0
	s_waitcnt lgkmcnt(0)
	flat_load_dword v0, v[4:5] glc
	s_waitcnt vmcnt(0) lgkmcnt(0)
	buffer_wbinvl1_vol
	v_cmp_eq_u32_e32 vcc, 0, v0
	s_and_b64 vcc, vcc, exec
	s_or_b64 s[36:37], s[36:37], vcc
	s_mov_b64 vcc, -1
	s_or_b64 s[34:35], s[34:35], exec
	s_and_saveexec_b64 s[38:39], s[36:37]
	s_cbranch_execz .LBB4_638
.LBB4_642:                              ;   in Loop: Header=BB4_639 Depth=3
	s_sleep 1
	s_trap 2
	ds_read_b64 v[4:5], v0
	s_waitcnt lgkmcnt(0)
	s_andn2_b64 s[34:35], s[34:35], exec
	v_cmp_ge_u64_e32 vcc, v[4:5], v[12:13]
	s_orn2_b64 vcc, vcc, exec
	s_branch .LBB4_638
.LBB4_643:                              ;   in Loop: Header=BB4_496 Depth=2
	s_or_b64 exec, exec, s[94:95]
	s_and_saveexec_b64 s[94:95], s[30:31]
	s_xor_b64 s[94:95], exec, s[94:95]
	s_cbranch_execz .LBB4_645
; %bb.644:                              ;   in Loop: Header=BB4_496 Depth=2
	ds_write_b32 v0, v24
	s_trap 2
.LBB4_645:                              ;   in Loop: Header=BB4_496 Depth=2
	s_or_b64 exec, exec, s[92:93]
	;;#ASMSTART
	s_wakeup
	;;#ASMEND
.LBB4_646:                              ;   in Loop: Header=BB4_496 Depth=2
	s_or_b64 exec, exec, s[90:91]
.LBB4_647:                              ;   in Loop: Header=BB4_496 Depth=2
	s_andn2_saveexec_b64 s[42:43], s[42:43]
	s_cbranch_execz .LBB4_649
; %bb.648:                              ;   in Loop: Header=BB4_496 Depth=2
	s_waitcnt vmcnt(0) lgkmcnt(0)
	buffer_wbinvl1_vol
	s_barrier
.LBB4_649:                              ;   in Loop: Header=BB4_496 Depth=2
	s_or_b64 exec, exec, s[42:43]
	s_or_b64 exec, exec, s[40:41]
                                        ; implicit-def: $vgpr0
	s_and_saveexec_b64 s[40:41], s[24:25]
	s_xor_b64 s[40:41], exec, s[40:41]
	s_cbranch_execnz .LBB4_573
.LBB4_650:                              ;   in Loop: Header=BB4_496 Depth=2
	s_andn2_saveexec_b64 s[28:29], s[40:41]
	s_cbranch_execz .LBB4_669
.LBB4_651:                              ;   in Loop: Header=BB4_496 Depth=2
	s_and_saveexec_b64 s[40:41], s[56:57]
	s_xor_b64 s[40:41], exec, s[40:41]
	s_cbranch_execz .LBB4_666
; %bb.652:                              ;   in Loop: Header=BB4_496 Depth=2
	s_and_saveexec_b64 s[42:43], s[16:17]
	s_cbranch_execz .LBB4_665
; %bb.653:                              ;   in Loop: Header=BB4_496 Depth=2
	s_mov_b64 s[92:93], exec
	v_mbcnt_lo_u32_b32 v0, s92, 0
	v_mbcnt_hi_u32_b32 v0, s93, v0
	v_cmp_eq_u32_e32 vcc, 0, v0
	;;#ASMSTART
	s_waitcnt lgkmcnt(0) vmcnt(0)
	;;#ASMEND
	s_and_saveexec_b64 s[90:91], vcc
	s_cbranch_execz .LBB4_655
; %bb.654:                              ;   in Loop: Header=BB4_496 Depth=2
	s_bcnt1_i32_b64 s92, s[92:93]
	v_mov_b32_e32 v4, s92
	v_mov_b32_e32 v5, v2
	s_waitcnt lgkmcnt(0)
	ds_add_u64 v0, v[4:5]
	s_trap 2
.LBB4_655:                              ;   in Loop: Header=BB4_496 Depth=2
	s_or_b64 exec, exec, s[90:91]
	s_trap 2
	ds_read_b64 v[4:5], v0
	s_waitcnt lgkmcnt(0)
	v_add_co_u32_e32 v12, vcc, v12, v61
	v_addc_co_u32_e32 v13, vcc, 0, v13, vcc
	v_cmp_lt_u64_e32 vcc, v[4:5], v[12:13]
	s_and_saveexec_b64 s[90:91], vcc
	s_cbranch_execz .LBB4_664
; %bb.656:                              ;   in Loop: Header=BB4_496 Depth=2
	s_mov_b32 s38, 0
	s_mov_b64 s[92:93], 0
                                        ; implicit-def: $sgpr94_sgpr95
                                        ; implicit-def: $sgpr30_sgpr31
	s_branch .LBB4_658
.LBB4_657:                              ;   in Loop: Header=BB4_658 Depth=3
	s_or_b64 exec, exec, s[36:37]
	s_and_b64 vcc, exec, vcc
	s_or_b64 s[92:93], vcc, s[92:93]
	s_andn2_b64 s[94:95], s[94:95], exec
	s_and_b64 vcc, s[30:31], exec
	s_or_b64 s[94:95], s[94:95], vcc
	s_andn2_b64 exec, exec, s[92:93]
	s_cbranch_execz .LBB4_662
.LBB4_658:                              ;   Parent Loop BB4_47 Depth=1
                                        ;     Parent Loop BB4_496 Depth=2
                                        ; =>    This Inner Loop Header: Depth=3
	s_add_i32 s38, s38, 1
	s_cmpk_lg_i32 s38, 0x2710
	s_cselect_b64 s[34:35], -1, 0
	s_and_b64 vcc, exec, s[34:35]
	s_cbranch_vccz .LBB4_660
; %bb.659:                              ;   in Loop: Header=BB4_658 Depth=3
	s_mov_b64 vcc, -1
	s_or_b64 s[30:31], s[30:31], exec
	s_and_saveexec_b64 s[36:37], s[34:35]
	s_cbranch_execz .LBB4_657
	s_branch .LBB4_661
.LBB4_660:                              ;   in Loop: Header=BB4_658 Depth=3
	s_trap 2
	ds_read_b64 v[4:5], v0
	s_andn2_b64 s[34:35], s[34:35], exec
	s_mov_b32 s38, 0
	s_waitcnt vmcnt(0) lgkmcnt(0)
	flat_load_dword v0, v[4:5] glc
	s_waitcnt vmcnt(0) lgkmcnt(0)
	buffer_wbinvl1_vol
	v_cmp_eq_u32_e32 vcc, 0, v0
	s_and_b64 vcc, vcc, exec
	s_or_b64 s[34:35], s[34:35], vcc
	s_mov_b64 vcc, -1
	s_or_b64 s[30:31], s[30:31], exec
	s_and_saveexec_b64 s[36:37], s[34:35]
	s_cbranch_execz .LBB4_657
.LBB4_661:                              ;   in Loop: Header=BB4_658 Depth=3
	s_sleep 1
	s_trap 2
	ds_read_b64 v[4:5], v0
	s_waitcnt lgkmcnt(0)
	s_andn2_b64 s[30:31], s[30:31], exec
	v_cmp_ge_u64_e32 vcc, v[4:5], v[12:13]
	s_orn2_b64 vcc, vcc, exec
	s_branch .LBB4_657
.LBB4_662:                              ;   in Loop: Header=BB4_496 Depth=2
	s_or_b64 exec, exec, s[92:93]
	s_and_saveexec_b64 s[92:93], s[94:95]
	s_xor_b64 s[92:93], exec, s[92:93]
	s_cbranch_execz .LBB4_664
; %bb.663:                              ;   in Loop: Header=BB4_496 Depth=2
	ds_write_b32 v0, v24
	s_trap 2
.LBB4_664:                              ;   in Loop: Header=BB4_496 Depth=2
	s_or_b64 exec, exec, s[90:91]
	;;#ASMSTART
	s_wakeup
	;;#ASMEND
.LBB4_665:                              ;   in Loop: Header=BB4_496 Depth=2
	s_or_b64 exec, exec, s[42:43]
.LBB4_666:                              ;   in Loop: Header=BB4_496 Depth=2
	s_andn2_saveexec_b64 s[40:41], s[40:41]
	s_cbranch_execz .LBB4_668
; %bb.667:                              ;   in Loop: Header=BB4_496 Depth=2
	;;#ASMSTART
	s_waitcnt lgkmcnt(0) vmcnt(0)
	;;#ASMEND
	s_waitcnt vmcnt(0) lgkmcnt(0)
	s_barrier
.LBB4_668:                              ;   in Loop: Header=BB4_496 Depth=2
	s_or_b64 exec, exec, s[40:41]
	v_and_b32_e32 v0, 16, v59
.LBB4_669:                              ;   in Loop: Header=BB4_496 Depth=2
	s_or_b64 exec, exec, s[28:29]
	v_cmp_ne_u32_e32 vcc, 0, v0
	s_xor_b64 s[28:29], s[12:13], -1
	s_and_b64 s[40:41], vcc, s[28:29]
	s_and_saveexec_b64 s[28:29], s[40:41]
	s_cbranch_execz .LBB4_671
; %bb.670:                              ;   in Loop: Header=BB4_496 Depth=2
	s_waitcnt vmcnt(0)
	flat_store_dword v[56:57], v24
.LBB4_671:                              ;   in Loop: Header=BB4_496 Depth=2
	s_or_b64 exec, exec, s[28:29]
	v_and_b32_e32 v0, 48, v59
	v_cmp_ne_u32_e32 vcc, 0, v0
	s_and_saveexec_b64 s[28:29], vcc
	s_cbranch_execz .LBB4_495
; %bb.672:                              ;   in Loop: Header=BB4_496 Depth=2
	v_add_co_u32_e32 v36, vcc, 2, v36
	v_addc_co_u32_e32 v37, vcc, 0, v37, vcc
	flat_store_dwordx2 v[20:21], v[36:37]
	s_branch .LBB4_495
.LBB4_673:                              ;   in Loop: Header=BB4_47 Depth=1
	s_or_b64 exec, exec, s[78:79]
.LBB4_674:                              ;   in Loop: Header=BB4_47 Depth=1
	s_or_b64 exec, exec, s[76:77]
	v_cmp_gt_i32_e32 vcc, 2, v0
	s_and_saveexec_b64 s[40:41], vcc
	s_cbranch_execz .LBB4_750
; %bb.675:                              ;   in Loop: Header=BB4_47 Depth=1
	v_cmp_eq_u32_e64 s[76:77], 0, v0
	s_mov_b64 s[42:43], 0
	s_branch .LBB4_677
.LBB4_676:                              ;   in Loop: Header=BB4_677 Depth=2
	s_or_b64 exec, exec, s[28:29]
	v_add_u32_e32 v52, v50, v52
	s_mov_b64 s[76:77], 0
	s_andn2_b64 exec, exec, s[42:43]
	s_cbranch_execz .LBB4_749
.LBB4_677:                              ;   Parent Loop BB4_47 Depth=1
                                        ; =>  This Loop Header: Depth=2
                                        ;       Child Loop BB4_683 Depth 3
                                        ;       Child Loop BB4_711 Depth 3
	;; [unrolled: 1-line block ×3, first 2 shown]
	v_sub_u32_e32 v0, v3, v52
	v_min_i32_e32 v50, v50, v0
	v_and_b32_e32 v0, 12, v59
	v_cmp_ne_u32_e32 vcc, 0, v0
	s_and_saveexec_b64 s[78:79], vcc
	s_cbranch_execz .LBB4_703
; %bb.678:                              ;   in Loop: Header=BB4_677 Depth=2
	v_and_b32_e32 v38, 8, v59
	s_waitcnt vmcnt(0) lgkmcnt(0)
	v_add_co_u32_e32 v4, vcc, v26, v38
	v_addc_co_u32_e32 v5, vcc, 0, v27, vcc
	v_add_co_u32_e32 v8, vcc, 2, v36
	v_addc_co_u32_e32 v9, vcc, 0, v37, vcc
	v_cmp_lt_u64_e32 vcc, v[4:5], v[8:9]
	s_and_saveexec_b64 s[88:89], vcc
	s_cbranch_execz .LBB4_690
; %bb.679:                              ;   in Loop: Header=BB4_677 Depth=2
	v_and_b32_e32 v0, 64, v59
	s_mov_b32 s75, 0
	v_cmp_eq_u32_e32 vcc, 0, v0
	s_mov_b64 s[90:91], 0
                                        ; implicit-def: $sgpr92_sgpr93
                                        ; implicit-def: $sgpr94_sgpr95
                                        ; implicit-def: $sgpr30_sgpr31
	s_branch .LBB4_683
.LBB4_680:                              ;   in Loop: Header=BB4_683 Depth=3
	s_waitcnt vmcnt(0) lgkmcnt(0)
	v_add_co_u32_e64 v4, s[28:29], v26, v38
	v_addc_co_u32_e64 v5, s[28:29], 0, v27, s[28:29]
	v_cmp_ge_u64_e64 s[28:29], v[4:5], v[8:9]
	s_or_b64 s[38:39], s[38:39], exec
	s_orn2_b64 s[36:37], s[28:29], exec
.LBB4_681:                              ;   in Loop: Header=BB4_683 Depth=3
	s_or_b64 exec, exec, s[50:51]
	s_andn2_b64 s[28:29], s[30:31], exec
	s_and_b64 s[30:31], s[38:39], exec
	s_or_b64 s[30:31], s[28:29], s[30:31]
	s_andn2_b64 s[28:29], s[94:95], exec
	s_and_b64 s[94:95], s[36:37], exec
	s_or_b64 s[94:95], s[28:29], s[94:95]
.LBB4_682:                              ;   in Loop: Header=BB4_683 Depth=3
	s_or_b64 exec, exec, s[34:35]
	s_and_b64 s[28:29], exec, s[94:95]
	s_or_b64 s[90:91], s[28:29], s[90:91]
	s_andn2_b64 s[28:29], s[92:93], exec
	s_and_b64 s[92:93], s[30:31], exec
	s_or_b64 s[92:93], s[28:29], s[92:93]
	s_andn2_b64 exec, exec, s[90:91]
	s_cbranch_execz .LBB4_687
.LBB4_683:                              ;   Parent Loop BB4_47 Depth=1
                                        ;     Parent Loop BB4_677 Depth=2
                                        ; =>    This Inner Loop Header: Depth=3
	s_sleep 1
	s_waitcnt vmcnt(0) lgkmcnt(0)
	flat_load_dwordx2 v[26:27], v[20:21] glc
	s_or_b64 s[30:31], s[30:31], exec
	s_or_b64 s[94:95], s[94:95], exec
                                        ; implicit-def: $vgpr0
	s_and_saveexec_b64 s[34:35], vcc
	s_cbranch_execz .LBB4_682
; %bb.684:                              ;   in Loop: Header=BB4_683 Depth=3
	s_cmpk_lt_i32 s75, 0x270f
	s_cselect_b64 s[48:49], -1, 0
	s_cmpk_gt_i32 s75, 0x270e
	s_mov_b64 s[36:37], -1
	s_cbranch_scc0 .LBB4_686
; %bb.685:                              ;   in Loop: Header=BB4_683 Depth=3
	s_trap 2
	ds_read_b64 v[4:5], v0
	s_andn2_b64 s[48:49], s[48:49], exec
	s_mov_b32 s75, 0
	s_mov_b64 s[38:39], 0
	s_waitcnt vmcnt(0) lgkmcnt(0)
	flat_load_dword v0, v[4:5] glc
	s_waitcnt vmcnt(0) lgkmcnt(0)
	buffer_wbinvl1_vol
	v_cmp_eq_u32_e64 s[28:29], 0, v0
	s_and_b64 s[28:29], s[28:29], exec
	s_or_b64 s[48:49], s[48:49], s[28:29]
	s_and_saveexec_b64 s[50:51], s[48:49]
	s_cbranch_execz .LBB4_681
	s_branch .LBB4_680
.LBB4_686:                              ;   in Loop: Header=BB4_683 Depth=3
	s_add_i32 s75, s75, 1
	s_mov_b64 s[38:39], -1
                                        ; implicit-def: $vgpr0
	s_and_saveexec_b64 s[50:51], s[48:49]
	s_cbranch_execz .LBB4_681
	s_branch .LBB4_680
.LBB4_687:                              ;   in Loop: Header=BB4_677 Depth=2
	s_or_b64 exec, exec, s[90:91]
	s_xor_b64 s[28:29], s[92:93], -1
	s_and_saveexec_b64 s[90:91], s[28:29]
	s_xor_b64 s[28:29], exec, s[90:91]
	s_cbranch_execz .LBB4_689
; %bb.688:                              ;   in Loop: Header=BB4_677 Depth=2
	v_or_b32_e32 v59, 64, v59
	s_waitcnt lgkmcnt(0)
	ds_write_b32 v0, v0
	s_trap 2
.LBB4_689:                              ;   in Loop: Header=BB4_677 Depth=2
	s_or_b64 exec, exec, s[28:29]
.LBB4_690:                              ;   in Loop: Header=BB4_677 Depth=2
	s_or_b64 exec, exec, s[88:89]
	v_and_b32_e32 v0, 0x108, v59
	v_cmp_ne_u32_e32 vcc, s54, v0
	;;#ASMSTART
	s_wakeup
	;;#ASMEND
                                        ; implicit-def: $vgpr10_vgpr11
	s_and_saveexec_b64 s[28:29], vcc
	s_xor_b64 s[28:29], exec, s[28:29]
; %bb.691:                              ;   in Loop: Header=BB4_677 Depth=2
	v_and_b32_e32 v10, 7, v36
	v_mov_b32_e32 v11, v2
                                        ; implicit-def: $vgpr36_vgpr37
; %bb.692:                              ;   in Loop: Header=BB4_677 Depth=2
	s_andn2_saveexec_b64 s[28:29], s[28:29]
	s_cbranch_execz .LBB4_694
; %bb.693:                              ;   in Loop: Header=BB4_677 Depth=2
	v_and_b32_e32 v10, 7, v36
	v_mad_u64_u32 v[4:5], s[88:89], v10, 24, v[42:43]
	v_ashrrev_i32_e32 v51, 31, v50
	v_lshlrev_b64 v[6:7], 2, v[50:51]
	v_mov_b32_e32 v11, v2
	flat_store_dwordx2 v[4:5], v[6:7] offset:8
.LBB4_694:                              ;   in Loop: Header=BB4_677 Depth=2
	s_or_b64 exec, exec, s[28:29]
	v_and_b32_e32 v0, 0x100, v59
	v_cmp_ne_u32_e32 vcc, 0, v0
	s_mov_b64 s[28:29], -1
                                        ; implicit-def: $vgpr36_vgpr37
	s_and_saveexec_b64 s[88:89], vcc
	s_cbranch_execz .LBB4_698
; %bb.695:                              ;   in Loop: Header=BB4_677 Depth=2
	v_mad_u64_u32 v[53:54], s[28:29], v10, 24, v[42:43]
                                        ; implicit-def: $vgpr36_vgpr37
	v_mov_b32_e32 v0, v54
	v_mad_u64_u32 v[4:5], s[28:29], v11, 24, v[0:1]
	v_mov_b32_e32 v54, v4
	flat_load_dword v0, v[53:54]
	s_waitcnt vmcnt(0) lgkmcnt(0)
	v_cmp_ne_u32_e32 vcc, 1, v0
	v_cmp_eq_u32_e64 s[28:29], 1, v0
	s_and_saveexec_b64 s[90:91], s[28:29]
	s_cbranch_execz .LBB4_697
; %bb.696:                              ;   in Loop: Header=BB4_677 Depth=2
	flat_load_dword v4, v[53:54] offset:4 glc
	s_waitcnt vmcnt(0) lgkmcnt(0)
	v_ashrrev_i32_e32 v5, 31, v4
	v_lshrrev_b64 v[36:37], 2, v[4:5]
.LBB4_697:                              ;   in Loop: Header=BB4_677 Depth=2
	s_or_b64 exec, exec, s[90:91]
	s_orn2_b64 s[28:29], vcc, exec
.LBB4_698:                              ;   in Loop: Header=BB4_677 Depth=2
	s_or_b64 exec, exec, s[88:89]
	s_and_saveexec_b64 s[88:89], s[28:29]
	s_cbranch_execz .LBB4_700
; %bb.699:                              ;   in Loop: Header=BB4_677 Depth=2
	v_mul_lo_u32 v0, v11, v60
	v_mul_lo_u32 v4, v10, v33
	v_mad_u64_u32 v[36:37], s[28:29], v10, v60, 0
	v_add3_u32 v37, v37, v4, v0
.LBB4_700:                              ;   in Loop: Header=BB4_677 Depth=2
	s_or_b64 exec, exec, s[88:89]
	v_lshlrev_b64 v[4:5], 2, v[36:37]
	v_cmp_eq_u32_e32 vcc, 0, v38
	v_cndmask_b32_e32 v0, v22, v31, vcc
	v_add_co_u32_e32 v4, vcc, v29, v4
	v_addc_co_u32_e32 v5, vcc, v30, v5, vcc
	v_add_u32_e32 v0, v0, v0
	ds_write_b64 v0, v[4:5] offset:584
	v_and_b32_e32 v0, 0x2000, v59
	v_cmp_ne_u32_e32 vcc, 0, v0
	s_and_saveexec_b64 s[28:29], vcc
	s_cbranch_execz .LBB4_702
; %bb.701:                              ;   in Loop: Header=BB4_677 Depth=2
	ds_read_b64 v[4:5], v0 offset:872
	s_waitcnt lgkmcnt(0)
	v_add_co_u32_e32 v4, vcc, 1, v4
	v_addc_co_u32_e32 v5, vcc, 0, v5, vcc
	ds_write_b64 v0, v[4:5] offset:872
.LBB4_702:                              ;   in Loop: Header=BB4_677 Depth=2
	s_or_b64 exec, exec, s[28:29]
	v_mov_b32_e32 v37, v9
	v_mov_b32_e32 v36, v8
.LBB4_703:                              ;   in Loop: Header=BB4_677 Depth=2
	s_or_b64 exec, exec, s[78:79]
	s_xor_b64 s[28:29], s[76:77], -1
	s_and_b64 s[28:29], exec, s[28:29]
	s_or_b64 s[42:43], s[28:29], s[42:43]
	s_and_saveexec_b64 s[28:29], s[10:11]
	s_cbranch_execz .LBB4_722
; %bb.704:                              ;   in Loop: Header=BB4_677 Depth=2
	s_and_saveexec_b64 s[76:77], s[56:57]
	s_xor_b64 s[76:77], exec, s[76:77]
	s_cbranch_execz .LBB4_719
; %bb.705:                              ;   in Loop: Header=BB4_677 Depth=2
	s_and_saveexec_b64 s[78:79], s[16:17]
	s_cbranch_execz .LBB4_718
; %bb.706:                              ;   in Loop: Header=BB4_677 Depth=2
	s_mov_b64 s[90:91], exec
	v_mbcnt_lo_u32_b32 v0, s90, 0
	v_mbcnt_hi_u32_b32 v0, s91, v0
	v_cmp_eq_u32_e32 vcc, 0, v0
	s_waitcnt vmcnt(0) lgkmcnt(0)
	buffer_wbinvl1_vol
	s_and_saveexec_b64 s[88:89], vcc
	s_cbranch_execz .LBB4_708
; %bb.707:                              ;   in Loop: Header=BB4_677 Depth=2
	s_bcnt1_i32_b64 s75, s[90:91]
	v_mov_b32_e32 v4, s75
	v_mov_b32_e32 v5, v2
	ds_add_u64 v0, v[4:5]
	s_trap 2
.LBB4_708:                              ;   in Loop: Header=BB4_677 Depth=2
	s_or_b64 exec, exec, s[88:89]
	s_trap 2
	ds_read_b64 v[4:5], v0
	s_waitcnt lgkmcnt(0)
	v_add_co_u32_e32 v12, vcc, v12, v61
	v_addc_co_u32_e32 v13, vcc, 0, v13, vcc
	v_cmp_lt_u64_e32 vcc, v[4:5], v[12:13]
	s_and_saveexec_b64 s[88:89], vcc
	s_cbranch_execz .LBB4_717
; %bb.709:                              ;   in Loop: Header=BB4_677 Depth=2
	s_mov_b32 s75, 0
	s_mov_b64 s[90:91], 0
                                        ; implicit-def: $sgpr92_sgpr93
                                        ; implicit-def: $sgpr94_sgpr95
	s_branch .LBB4_711
.LBB4_710:                              ;   in Loop: Header=BB4_711 Depth=3
	s_or_b64 exec, exec, s[34:35]
	s_and_b64 vcc, exec, vcc
	s_or_b64 s[90:91], vcc, s[90:91]
	s_andn2_b64 s[92:93], s[92:93], exec
	s_and_b64 vcc, s[94:95], exec
	s_or_b64 s[92:93], s[92:93], vcc
	s_andn2_b64 exec, exec, s[90:91]
	s_cbranch_execz .LBB4_715
.LBB4_711:                              ;   Parent Loop BB4_47 Depth=1
                                        ;     Parent Loop BB4_677 Depth=2
                                        ; =>    This Inner Loop Header: Depth=3
	s_add_i32 s75, s75, 1
	s_cmpk_lg_i32 s75, 0x2710
	s_cselect_b64 s[30:31], -1, 0
	s_and_b64 vcc, exec, s[30:31]
	s_cbranch_vccz .LBB4_713
; %bb.712:                              ;   in Loop: Header=BB4_711 Depth=3
	s_mov_b64 vcc, -1
	s_or_b64 s[94:95], s[94:95], exec
	s_and_saveexec_b64 s[34:35], s[30:31]
	s_cbranch_execz .LBB4_710
	s_branch .LBB4_714
.LBB4_713:                              ;   in Loop: Header=BB4_711 Depth=3
	s_trap 2
	ds_read_b64 v[4:5], v0
	s_andn2_b64 s[30:31], s[30:31], exec
	s_mov_b32 s75, 0
	s_waitcnt lgkmcnt(0)
	flat_load_dword v0, v[4:5] glc
	s_waitcnt vmcnt(0) lgkmcnt(0)
	buffer_wbinvl1_vol
	v_cmp_eq_u32_e32 vcc, 0, v0
	s_and_b64 vcc, vcc, exec
	s_or_b64 s[30:31], s[30:31], vcc
	s_mov_b64 vcc, -1
	s_or_b64 s[94:95], s[94:95], exec
	s_and_saveexec_b64 s[34:35], s[30:31]
	s_cbranch_execz .LBB4_710
.LBB4_714:                              ;   in Loop: Header=BB4_711 Depth=3
	s_sleep 1
	s_trap 2
	ds_read_b64 v[4:5], v0
	s_waitcnt lgkmcnt(0)
	s_andn2_b64 s[94:95], s[94:95], exec
	v_cmp_ge_u64_e32 vcc, v[4:5], v[12:13]
	s_orn2_b64 vcc, vcc, exec
	s_branch .LBB4_710
.LBB4_715:                              ;   in Loop: Header=BB4_677 Depth=2
	s_or_b64 exec, exec, s[90:91]
	s_and_saveexec_b64 s[90:91], s[92:93]
	s_xor_b64 s[90:91], exec, s[90:91]
	s_cbranch_execz .LBB4_717
; %bb.716:                              ;   in Loop: Header=BB4_677 Depth=2
	ds_write_b32 v0, v24
	s_trap 2
.LBB4_717:                              ;   in Loop: Header=BB4_677 Depth=2
	s_or_b64 exec, exec, s[88:89]
	;;#ASMSTART
	s_wakeup
	;;#ASMEND
.LBB4_718:                              ;   in Loop: Header=BB4_677 Depth=2
	s_or_b64 exec, exec, s[78:79]
.LBB4_719:                              ;   in Loop: Header=BB4_677 Depth=2
	s_andn2_saveexec_b64 s[76:77], s[76:77]
	s_cbranch_execz .LBB4_721
; %bb.720:                              ;   in Loop: Header=BB4_677 Depth=2
	s_waitcnt vmcnt(0) lgkmcnt(0)
	buffer_wbinvl1_vol
	s_barrier
.LBB4_721:                              ;   in Loop: Header=BB4_677 Depth=2
	s_or_b64 exec, exec, s[76:77]
.LBB4_722:                              ;   in Loop: Header=BB4_677 Depth=2
	s_or_b64 exec, exec, s[28:29]
                                        ; implicit-def: $vgpr0
	s_and_saveexec_b64 s[28:29], s[24:25]
	s_xor_b64 s[28:29], exec, s[28:29]
	s_cbranch_execz .LBB4_726
; %bb.723:                              ;   in Loop: Header=BB4_677 Depth=2
	s_trap 2
	ds_read_b32 v0, v0
	v_cmp_lt_i32_e32 vcc, 0, v50
	v_and_b32_e32 v4, 16, v59
	s_waitcnt lgkmcnt(0)
	v_readfirstlane_b32 s75, v0
	s_cmp_eq_u32 s75, 0
	s_cselect_b64 s[76:77], -1, 0
	s_and_b64 s[76:77], vcc, s[76:77]
	v_cmp_ne_u32_e32 vcc, 0, v4
	v_and_b32_e32 v0, 16, v59
	s_and_b64 s[78:79], vcc, s[76:77]
	s_and_saveexec_b64 s[76:77], s[78:79]
	s_cbranch_execz .LBB4_725
; %bb.724:                              ;   in Loop: Header=BB4_677 Depth=2
	v_mov_b32_e32 v0, 1
	s_waitcnt vmcnt(0)
	buffer_wbinvl1_vol
.LBB4_725:                              ;   in Loop: Header=BB4_677 Depth=2
	s_or_b64 exec, exec, s[76:77]
	s_andn2_saveexec_b64 s[28:29], s[28:29]
	s_cbranch_execz .LBB4_745
	s_branch .LBB4_727
.LBB4_726:                              ;   in Loop: Header=BB4_677 Depth=2
	s_andn2_saveexec_b64 s[28:29], s[28:29]
	s_cbranch_execz .LBB4_745
.LBB4_727:                              ;   in Loop: Header=BB4_677 Depth=2
	s_and_saveexec_b64 s[76:77], s[56:57]
	s_xor_b64 s[76:77], exec, s[76:77]
	s_cbranch_execz .LBB4_742
; %bb.728:                              ;   in Loop: Header=BB4_677 Depth=2
	s_and_saveexec_b64 s[78:79], s[16:17]
	s_cbranch_execz .LBB4_741
; %bb.729:                              ;   in Loop: Header=BB4_677 Depth=2
	s_mov_b64 s[90:91], exec
	v_mbcnt_lo_u32_b32 v0, s90, 0
	v_mbcnt_hi_u32_b32 v0, s91, v0
	v_cmp_eq_u32_e32 vcc, 0, v0
	;;#ASMSTART
	s_waitcnt lgkmcnt(0) vmcnt(0)
	;;#ASMEND
	s_and_saveexec_b64 s[88:89], vcc
	s_cbranch_execz .LBB4_731
; %bb.730:                              ;   in Loop: Header=BB4_677 Depth=2
	s_bcnt1_i32_b64 s75, s[90:91]
	v_mov_b32_e32 v4, s75
	v_mov_b32_e32 v5, v2
	s_waitcnt lgkmcnt(0)
	ds_add_u64 v0, v[4:5]
	s_trap 2
.LBB4_731:                              ;   in Loop: Header=BB4_677 Depth=2
	s_or_b64 exec, exec, s[88:89]
	s_trap 2
	ds_read_b64 v[4:5], v0
	s_waitcnt lgkmcnt(0)
	v_add_co_u32_e32 v12, vcc, v12, v61
	v_addc_co_u32_e32 v13, vcc, 0, v13, vcc
	v_cmp_lt_u64_e32 vcc, v[4:5], v[12:13]
	s_and_saveexec_b64 s[88:89], vcc
	s_cbranch_execz .LBB4_740
; %bb.732:                              ;   in Loop: Header=BB4_677 Depth=2
	s_mov_b32 s75, 0
	s_mov_b64 s[90:91], 0
                                        ; implicit-def: $sgpr92_sgpr93
                                        ; implicit-def: $sgpr94_sgpr95
	s_branch .LBB4_734
.LBB4_733:                              ;   in Loop: Header=BB4_734 Depth=3
	s_or_b64 exec, exec, s[34:35]
	s_and_b64 vcc, exec, vcc
	s_or_b64 s[90:91], vcc, s[90:91]
	s_andn2_b64 s[92:93], s[92:93], exec
	s_and_b64 vcc, s[94:95], exec
	s_or_b64 s[92:93], s[92:93], vcc
	s_andn2_b64 exec, exec, s[90:91]
	s_cbranch_execz .LBB4_738
.LBB4_734:                              ;   Parent Loop BB4_47 Depth=1
                                        ;     Parent Loop BB4_677 Depth=2
                                        ; =>    This Inner Loop Header: Depth=3
	s_add_i32 s75, s75, 1
	s_cmpk_lg_i32 s75, 0x2710
	s_cselect_b64 s[30:31], -1, 0
	s_and_b64 vcc, exec, s[30:31]
	s_cbranch_vccz .LBB4_736
; %bb.735:                              ;   in Loop: Header=BB4_734 Depth=3
	s_mov_b64 vcc, -1
	s_or_b64 s[94:95], s[94:95], exec
	s_and_saveexec_b64 s[34:35], s[30:31]
	s_cbranch_execz .LBB4_733
	s_branch .LBB4_737
.LBB4_736:                              ;   in Loop: Header=BB4_734 Depth=3
	s_trap 2
	ds_read_b64 v[4:5], v0
	s_andn2_b64 s[30:31], s[30:31], exec
	s_mov_b32 s75, 0
	s_waitcnt vmcnt(0) lgkmcnt(0)
	flat_load_dword v0, v[4:5] glc
	s_waitcnt vmcnt(0) lgkmcnt(0)
	buffer_wbinvl1_vol
	v_cmp_eq_u32_e32 vcc, 0, v0
	s_and_b64 vcc, vcc, exec
	s_or_b64 s[30:31], s[30:31], vcc
	s_mov_b64 vcc, -1
	s_or_b64 s[94:95], s[94:95], exec
	s_and_saveexec_b64 s[34:35], s[30:31]
	s_cbranch_execz .LBB4_733
.LBB4_737:                              ;   in Loop: Header=BB4_734 Depth=3
	s_sleep 1
	s_trap 2
	ds_read_b64 v[4:5], v0
	s_waitcnt lgkmcnt(0)
	s_andn2_b64 s[94:95], s[94:95], exec
	v_cmp_ge_u64_e32 vcc, v[4:5], v[12:13]
	s_orn2_b64 vcc, vcc, exec
	s_branch .LBB4_733
.LBB4_738:                              ;   in Loop: Header=BB4_677 Depth=2
	s_or_b64 exec, exec, s[90:91]
	s_and_saveexec_b64 s[90:91], s[92:93]
	s_xor_b64 s[90:91], exec, s[90:91]
	s_cbranch_execz .LBB4_740
; %bb.739:                              ;   in Loop: Header=BB4_677 Depth=2
	ds_write_b32 v0, v24
	s_trap 2
.LBB4_740:                              ;   in Loop: Header=BB4_677 Depth=2
	s_or_b64 exec, exec, s[88:89]
	;;#ASMSTART
	s_wakeup
	;;#ASMEND
.LBB4_741:                              ;   in Loop: Header=BB4_677 Depth=2
	s_or_b64 exec, exec, s[78:79]
.LBB4_742:                              ;   in Loop: Header=BB4_677 Depth=2
	s_andn2_saveexec_b64 s[76:77], s[76:77]
	s_cbranch_execz .LBB4_744
; %bb.743:                              ;   in Loop: Header=BB4_677 Depth=2
	;;#ASMSTART
	s_waitcnt lgkmcnt(0) vmcnt(0)
	;;#ASMEND
	s_waitcnt vmcnt(0) lgkmcnt(0)
	s_barrier
.LBB4_744:                              ;   in Loop: Header=BB4_677 Depth=2
	s_or_b64 exec, exec, s[76:77]
	v_and_b32_e32 v0, 16, v59
.LBB4_745:                              ;   in Loop: Header=BB4_677 Depth=2
	s_or_b64 exec, exec, s[28:29]
	v_cmp_ne_u32_e32 vcc, 0, v0
	s_xor_b64 s[28:29], s[12:13], -1
	s_and_b64 s[76:77], vcc, s[28:29]
	s_and_saveexec_b64 s[28:29], s[76:77]
	s_cbranch_execz .LBB4_747
; %bb.746:                              ;   in Loop: Header=BB4_677 Depth=2
	s_waitcnt vmcnt(0)
	flat_store_dword v[56:57], v24
.LBB4_747:                              ;   in Loop: Header=BB4_677 Depth=2
	s_or_b64 exec, exec, s[28:29]
	v_and_b32_e32 v0, 48, v59
	v_cmp_ne_u32_e32 vcc, 0, v0
	s_and_saveexec_b64 s[28:29], vcc
	s_cbranch_execz .LBB4_676
; %bb.748:                              ;   in Loop: Header=BB4_677 Depth=2
	v_add_co_u32_e32 v36, vcc, 2, v36
	v_addc_co_u32_e32 v37, vcc, 0, v37, vcc
	flat_store_dwordx2 v[20:21], v[36:37]
	s_branch .LBB4_676
.LBB4_749:                              ;   in Loop: Header=BB4_47 Depth=1
	s_or_b64 exec, exec, s[42:43]
.LBB4_750:                              ;   in Loop: Header=BB4_47 Depth=1
	s_or_b64 exec, exec, s[40:41]
	buffer_load_dword v50, off, s[0:3], s33 offset:148 ; 4-byte Folded Reload
	buffer_load_dword v51, off, s[0:3], s33 offset:152 ; 4-byte Folded Reload
	s_and_b64 vcc, exec, s[26:27]
	s_cbranch_vccnz .LBB4_1013
; %bb.751:                              ;   in Loop: Header=BB4_47 Depth=1
	s_mov_b32 s75, 1
.LBB4_752:                              ;   Parent Loop BB4_47 Depth=1
                                        ; =>  This Loop Header: Depth=2
                                        ;       Child Loop BB4_755 Depth 3
                                        ;         Child Loop BB4_763 Depth 4
                                        ;         Child Loop BB4_791 Depth 4
                                        ;         Child Loop BB4_810 Depth 4
                                        ;         Child Loop BB4_871 Depth 4
                                        ;         Child Loop BB4_876 Depth 4
                                        ;         Child Loop BB4_884 Depth 4
                                        ;         Child Loop BB4_889 Depth 4
                                        ;         Child Loop BB4_839 Depth 4
                                        ;         Child Loop BB4_844 Depth 4
                                        ;           Child Loop BB4_845 Depth 5
                                        ;         Child Loop BB4_854 Depth 4
                                        ;         Child Loop BB4_859 Depth 4
                                        ;           Child Loop BB4_860 Depth 5
                                        ;         Child Loop BB4_900 Depth 4
                                        ;         Child Loop BB4_919 Depth 4
                                        ;       Child Loop BB4_938 Depth 3
                                        ;         Child Loop BB4_944 Depth 4
                                        ;         Child Loop BB4_972 Depth 4
	;; [unrolled: 1-line block ×3, first 2 shown]
	buffer_load_dword v5, off, s[0:3], s33 offset:116 ; 4-byte Folded Reload
	buffer_load_dword v6, off, s[0:3], s33 offset:120 ; 4-byte Folded Reload
	s_sub_i32 s26, s65, s75
	s_cmp_ge_i32 s26, s52
	s_cselect_b32 s27, s52, 0
	s_sub_i32 s26, s26, s27
	s_ashr_i32 s28, s26, 31
	v_mov_b32_e32 v52, 0
	s_waitcnt vmcnt(0)
	v_mul_lo_u32 v3, v5, s28
	v_mul_lo_u32 v0, v6, s26
	v_mad_u64_u32 v[8:9], s[26:27], v5, s26, 0
	v_add3_u32 v9, v9, v3, v0
	buffer_load_dword v3, off, s[0:3], s33 offset:108 ; 4-byte Folded Reload
	buffer_load_dword v4, off, s[0:3], s33 offset:112 ; 4-byte Folded Reload
	s_waitcnt vmcnt(0)
	v_sub_co_u32_e32 v3, vcc, v3, v8
	v_subb_co_u32_e32 v4, vcc, v4, v9, vcc
	v_cmp_lt_i64_e32 vcc, v[5:6], v[3:4]
	v_cndmask_b32_e32 v0, v3, v5, vcc
	v_max_i32_e32 v3, 0, v0
	v_add_u32_e32 v4, 31, v3
	v_lshrrev_b32_e32 v4, 1, v4
	v_and_b32_e32 v4, 0x3ffffff0, v4
	v_cmp_lt_i32_e32 vcc, 0, v0
	v_max_i32_e32 v50, s68, v4
	s_and_b64 s[26:27], s[72:73], vcc
	v_mov_b32_e32 v0, 0
	s_and_saveexec_b64 s[42:43], s[26:27]
	s_cbranch_execz .LBB4_935
; %bb.753:                              ;   in Loop: Header=BB4_752 Depth=2
	buffer_load_dword v4, off, s[0:3], s33 offset:132 ; 4-byte Folded Reload
	buffer_load_dword v5, off, s[0:3], s33 offset:136 ; 4-byte Folded Reload
	s_mov_b32 s50, 1
	s_mov_b64 s[78:79], -1
	v_mov_b32_e32 v52, 0
	s_mov_b64 s[76:77], 0
	s_waitcnt vmcnt(0)
	v_add_co_u32_e32 v4, vcc, v8, v4
	v_addc_co_u32_e32 v5, vcc, v9, v5, vcc
	v_lshlrev_b64 v[54:55], 2, v[4:5]
	s_branch .LBB4_755
.LBB4_754:                              ;   in Loop: Header=BB4_755 Depth=3
	s_or_b64 exec, exec, s[26:27]
	v_add_u32_e32 v52, v50, v52
	v_cmp_ge_i32_e32 vcc, v52, v3
	s_xor_b64 s[26:27], s[78:79], -1
	s_or_b64 s[26:27], s[26:27], vcc
	s_and_b64 s[26:27], exec, s[26:27]
	s_or_b64 s[76:77], s[26:27], s[76:77]
	s_mov_b64 s[78:79], 0
	v_mov_b32_e32 v0, s50
	s_mov_b32 s50, 2
	s_andn2_b64 exec, exec, s[76:77]
	s_cbranch_execz .LBB4_934
.LBB4_755:                              ;   Parent Loop BB4_47 Depth=1
                                        ;     Parent Loop BB4_752 Depth=2
                                        ; =>    This Loop Header: Depth=3
                                        ;         Child Loop BB4_763 Depth 4
                                        ;         Child Loop BB4_791 Depth 4
	;; [unrolled: 1-line block ×9, first 2 shown]
                                        ;           Child Loop BB4_845 Depth 5
                                        ;         Child Loop BB4_854 Depth 4
                                        ;         Child Loop BB4_859 Depth 4
                                        ;           Child Loop BB4_860 Depth 5
                                        ;         Child Loop BB4_900 Depth 4
                                        ;         Child Loop BB4_919 Depth 4
	s_and_saveexec_b64 s[26:27], s[4:5]
	s_cbranch_execz .LBB4_757
; %bb.756:                              ;   in Loop: Header=BB4_755 Depth=3
	s_trap 2
	s_waitcnt vmcnt(0)
	ds_read_b128 v[4:7], v0
	v_ashrrev_i32_e32 v53, 31, v52
	s_waitcnt lgkmcnt(0)
	v_add_co_u32_e32 v0, vcc, v4, v54
	v_addc_co_u32_e32 v9, vcc, v5, v55, vcc
	v_lshlrev_b64 v[4:5], 2, v[52:53]
	v_add_co_u32_e32 v8, vcc, v0, v4
	v_addc_co_u32_e32 v9, vcc, v9, v5, vcc
	ds_write_b64 v0, v[8:9]
	v_add_co_u32_e32 v0, vcc, v6, v54
	v_addc_co_u32_e32 v8, vcc, v7, v55, vcc
	v_add_co_u32_e32 v0, vcc, v0, v4
	v_addc_co_u32_e32 v4, vcc, v8, v5, vcc
	v_cmp_ne_u64_e32 vcc, 0, v[6:7]
	v_cndmask_b32_e32 v5, 0, v4, vcc
	v_cndmask_b32_e32 v4, 0, v0, vcc
	ds_write_b64 v0, v[4:5]
.LBB4_757:                              ;   in Loop: Header=BB4_755 Depth=3
	s_or_b64 exec, exec, s[26:27]
	v_sub_u32_e32 v0, v3, v52
	v_min_i32_e32 v50, v50, v0
	v_and_b32_e32 v0, 12, v59
	v_cmp_ne_u32_e32 vcc, 0, v0
	s_and_saveexec_b64 s[28:29], vcc
	s_cbranch_execz .LBB4_783
; %bb.758:                              ;   in Loop: Header=BB4_755 Depth=3
	v_and_b32_e32 v38, 8, v59
	s_waitcnt vmcnt(0) lgkmcnt(0)
	v_add_co_u32_e32 v4, vcc, v26, v38
	v_addc_co_u32_e32 v5, vcc, 0, v27, vcc
	v_add_co_u32_e32 v8, vcc, 2, v36
	v_addc_co_u32_e32 v9, vcc, 0, v37, vcc
	v_cmp_lt_u64_e32 vcc, v[4:5], v[8:9]
	s_and_saveexec_b64 s[40:41], vcc
	s_cbranch_execz .LBB4_770
; %bb.759:                              ;   in Loop: Header=BB4_755 Depth=3
	v_and_b32_e32 v0, 64, v59
	s_mov_b32 s51, 0
	v_cmp_eq_u32_e32 vcc, 0, v0
	s_mov_b64 s[88:89], 0
                                        ; implicit-def: $sgpr90_sgpr91
                                        ; implicit-def: $sgpr92_sgpr93
                                        ; implicit-def: $sgpr94_sgpr95
	s_branch .LBB4_763
.LBB4_760:                              ;   in Loop: Header=BB4_763 Depth=4
	s_waitcnt vmcnt(0) lgkmcnt(0)
	v_add_co_u32_e64 v4, s[26:27], v26, v38
	v_addc_co_u32_e64 v5, s[26:27], 0, v27, s[26:27]
	v_cmp_ge_u64_e64 s[26:27], v[4:5], v[8:9]
	s_or_b64 s[36:37], s[36:37], exec
	s_orn2_b64 s[34:35], s[26:27], exec
.LBB4_761:                              ;   in Loop: Header=BB4_763 Depth=4
	s_or_b64 exec, exec, s[48:49]
	s_andn2_b64 s[26:27], s[94:95], exec
	s_and_b64 s[94:95], s[36:37], exec
	s_or_b64 s[94:95], s[26:27], s[94:95]
	s_andn2_b64 s[26:27], s[92:93], exec
	s_and_b64 s[92:93], s[34:35], exec
	s_or_b64 s[92:93], s[26:27], s[92:93]
.LBB4_762:                              ;   in Loop: Header=BB4_763 Depth=4
	s_or_b64 exec, exec, s[30:31]
	s_and_b64 s[26:27], exec, s[92:93]
	s_or_b64 s[88:89], s[26:27], s[88:89]
	s_andn2_b64 s[26:27], s[90:91], exec
	s_and_b64 s[90:91], s[94:95], exec
	s_or_b64 s[90:91], s[26:27], s[90:91]
	s_andn2_b64 exec, exec, s[88:89]
	s_cbranch_execz .LBB4_767
.LBB4_763:                              ;   Parent Loop BB4_47 Depth=1
                                        ;     Parent Loop BB4_752 Depth=2
                                        ;       Parent Loop BB4_755 Depth=3
                                        ; =>      This Inner Loop Header: Depth=4
	s_sleep 1
	s_waitcnt vmcnt(0) lgkmcnt(0)
	flat_load_dwordx2 v[26:27], v[20:21] glc
	s_or_b64 s[94:95], s[94:95], exec
	s_or_b64 s[92:93], s[92:93], exec
                                        ; implicit-def: $vgpr0
	s_and_saveexec_b64 s[30:31], vcc
	s_cbranch_execz .LBB4_762
; %bb.764:                              ;   in Loop: Header=BB4_763 Depth=4
	s_cmpk_lt_i32 s51, 0x270f
	s_cselect_b64 s[38:39], -1, 0
	s_cmpk_gt_i32 s51, 0x270e
	s_mov_b64 s[34:35], -1
	s_cbranch_scc0 .LBB4_766
; %bb.765:                              ;   in Loop: Header=BB4_763 Depth=4
	s_trap 2
	ds_read_b64 v[4:5], v0
	s_andn2_b64 s[38:39], s[38:39], exec
	s_mov_b32 s51, 0
	s_mov_b64 s[36:37], 0
	s_waitcnt vmcnt(0) lgkmcnt(0)
	flat_load_dword v0, v[4:5] glc
	s_waitcnt vmcnt(0) lgkmcnt(0)
	buffer_wbinvl1_vol
	v_cmp_eq_u32_e64 s[26:27], 0, v0
	s_and_b64 s[26:27], s[26:27], exec
	s_or_b64 s[38:39], s[38:39], s[26:27]
	s_and_saveexec_b64 s[48:49], s[38:39]
	s_cbranch_execz .LBB4_761
	s_branch .LBB4_760
.LBB4_766:                              ;   in Loop: Header=BB4_763 Depth=4
	s_add_i32 s51, s51, 1
	s_mov_b64 s[36:37], -1
                                        ; implicit-def: $vgpr0
	s_and_saveexec_b64 s[48:49], s[38:39]
	s_cbranch_execz .LBB4_761
	s_branch .LBB4_760
.LBB4_767:                              ;   in Loop: Header=BB4_755 Depth=3
	s_or_b64 exec, exec, s[88:89]
	s_xor_b64 s[26:27], s[90:91], -1
	s_and_saveexec_b64 s[88:89], s[26:27]
	s_xor_b64 s[26:27], exec, s[88:89]
	s_cbranch_execz .LBB4_769
; %bb.768:                              ;   in Loop: Header=BB4_755 Depth=3
	v_or_b32_e32 v59, 64, v59
	s_waitcnt lgkmcnt(0)
	ds_write_b32 v0, v0
	s_trap 2
.LBB4_769:                              ;   in Loop: Header=BB4_755 Depth=3
	s_or_b64 exec, exec, s[26:27]
.LBB4_770:                              ;   in Loop: Header=BB4_755 Depth=3
	s_or_b64 exec, exec, s[40:41]
	v_and_b32_e32 v0, 0x108, v59
	v_cmp_ne_u32_e32 vcc, s54, v0
	;;#ASMSTART
	s_wakeup
	;;#ASMEND
                                        ; implicit-def: $vgpr10_vgpr11
	s_and_saveexec_b64 s[26:27], vcc
	s_xor_b64 s[26:27], exec, s[26:27]
; %bb.771:                              ;   in Loop: Header=BB4_755 Depth=3
	v_and_b32_e32 v10, 7, v36
	v_mov_b32_e32 v11, v2
                                        ; implicit-def: $vgpr36_vgpr37
; %bb.772:                              ;   in Loop: Header=BB4_755 Depth=3
	s_andn2_saveexec_b64 s[26:27], s[26:27]
	s_cbranch_execz .LBB4_774
; %bb.773:                              ;   in Loop: Header=BB4_755 Depth=3
	v_and_b32_e32 v10, 7, v36
	v_mad_u64_u32 v[4:5], s[40:41], v10, 24, v[42:43]
	v_ashrrev_i32_e32 v51, 31, v50
	v_lshlrev_b64 v[6:7], 2, v[50:51]
	v_mov_b32_e32 v11, v2
	flat_store_dwordx2 v[4:5], v[6:7] offset:8
.LBB4_774:                              ;   in Loop: Header=BB4_755 Depth=3
	s_or_b64 exec, exec, s[26:27]
	v_and_b32_e32 v0, 0x100, v59
	v_cmp_ne_u32_e32 vcc, 0, v0
	s_mov_b64 s[26:27], -1
                                        ; implicit-def: $vgpr36_vgpr37
	s_and_saveexec_b64 s[40:41], vcc
	s_cbranch_execz .LBB4_778
; %bb.775:                              ;   in Loop: Header=BB4_755 Depth=3
	v_mad_u64_u32 v[40:41], s[26:27], v10, 24, v[42:43]
                                        ; implicit-def: $vgpr36_vgpr37
	v_mov_b32_e32 v0, v41
	v_mad_u64_u32 v[4:5], s[26:27], v11, 24, v[0:1]
	v_mov_b32_e32 v41, v4
	flat_load_dword v0, v[40:41]
	s_waitcnt vmcnt(0) lgkmcnt(0)
	v_cmp_ne_u32_e32 vcc, 1, v0
	v_cmp_eq_u32_e64 s[26:27], 1, v0
	s_and_saveexec_b64 s[88:89], s[26:27]
	s_cbranch_execz .LBB4_777
; %bb.776:                              ;   in Loop: Header=BB4_755 Depth=3
	flat_load_dword v4, v[40:41] offset:4 glc
	s_waitcnt vmcnt(0) lgkmcnt(0)
	v_ashrrev_i32_e32 v5, 31, v4
	v_lshrrev_b64 v[36:37], 2, v[4:5]
.LBB4_777:                              ;   in Loop: Header=BB4_755 Depth=3
	s_or_b64 exec, exec, s[88:89]
	s_orn2_b64 s[26:27], vcc, exec
.LBB4_778:                              ;   in Loop: Header=BB4_755 Depth=3
	s_or_b64 exec, exec, s[40:41]
	s_and_saveexec_b64 s[40:41], s[26:27]
	s_cbranch_execz .LBB4_780
; %bb.779:                              ;   in Loop: Header=BB4_755 Depth=3
	v_mul_lo_u32 v0, v11, v60
	v_mul_lo_u32 v4, v10, v33
	v_mad_u64_u32 v[36:37], s[26:27], v10, v60, 0
	v_add3_u32 v37, v37, v4, v0
.LBB4_780:                              ;   in Loop: Header=BB4_755 Depth=3
	s_or_b64 exec, exec, s[40:41]
	v_lshlrev_b64 v[4:5], 2, v[36:37]
	v_cmp_eq_u32_e32 vcc, 0, v38
	v_cndmask_b32_e32 v0, v22, v23, vcc
	v_add_co_u32_e32 v4, vcc, v29, v4
	v_addc_co_u32_e32 v5, vcc, v30, v5, vcc
	v_add_u32_e32 v0, v0, v0
	ds_write_b64 v0, v[4:5] offset:584
	v_and_b32_e32 v0, 0x2000, v59
	v_cmp_ne_u32_e32 vcc, 0, v0
	s_and_saveexec_b64 s[26:27], vcc
	s_cbranch_execz .LBB4_782
; %bb.781:                              ;   in Loop: Header=BB4_755 Depth=3
	ds_read_b64 v[4:5], v0 offset:872
	s_waitcnt lgkmcnt(0)
	v_add_co_u32_e32 v4, vcc, 1, v4
	v_addc_co_u32_e32 v5, vcc, 0, v5, vcc
	ds_write_b64 v0, v[4:5] offset:872
.LBB4_782:                              ;   in Loop: Header=BB4_755 Depth=3
	s_or_b64 exec, exec, s[26:27]
	v_mov_b32_e32 v37, v9
	v_mov_b32_e32 v36, v8
.LBB4_783:                              ;   in Loop: Header=BB4_755 Depth=3
	s_or_b64 exec, exec, s[28:29]
	s_and_saveexec_b64 s[26:27], s[10:11]
	s_cbranch_execz .LBB4_802
; %bb.784:                              ;   in Loop: Header=BB4_755 Depth=3
	s_and_saveexec_b64 s[28:29], s[56:57]
	s_xor_b64 s[28:29], exec, s[28:29]
	s_cbranch_execz .LBB4_799
; %bb.785:                              ;   in Loop: Header=BB4_755 Depth=3
	s_and_saveexec_b64 s[40:41], s[16:17]
	s_cbranch_execz .LBB4_798
; %bb.786:                              ;   in Loop: Header=BB4_755 Depth=3
	s_mov_b64 s[90:91], exec
	v_mbcnt_lo_u32_b32 v0, s90, 0
	v_mbcnt_hi_u32_b32 v0, s91, v0
	v_cmp_eq_u32_e32 vcc, 0, v0
	s_waitcnt vmcnt(0) lgkmcnt(0)
	buffer_wbinvl1_vol
	s_and_saveexec_b64 s[88:89], vcc
	s_cbranch_execz .LBB4_788
; %bb.787:                              ;   in Loop: Header=BB4_755 Depth=3
	s_bcnt1_i32_b64 s90, s[90:91]
	v_mov_b32_e32 v4, s90
	v_mov_b32_e32 v5, v2
	ds_add_u64 v0, v[4:5]
	s_trap 2
.LBB4_788:                              ;   in Loop: Header=BB4_755 Depth=3
	s_or_b64 exec, exec, s[88:89]
	s_trap 2
	ds_read_b64 v[4:5], v0
	s_waitcnt lgkmcnt(0)
	v_add_co_u32_e32 v12, vcc, v12, v61
	v_addc_co_u32_e32 v13, vcc, 0, v13, vcc
	v_cmp_lt_u64_e32 vcc, v[4:5], v[12:13]
	s_and_saveexec_b64 s[88:89], vcc
	s_cbranch_execz .LBB4_797
; %bb.789:                              ;   in Loop: Header=BB4_755 Depth=3
	s_mov_b32 s36, 0
	s_mov_b64 s[90:91], 0
                                        ; implicit-def: $sgpr92_sgpr93
                                        ; implicit-def: $sgpr94_sgpr95
	s_branch .LBB4_791
.LBB4_790:                              ;   in Loop: Header=BB4_791 Depth=4
	s_or_b64 exec, exec, s[34:35]
	s_and_b64 vcc, exec, vcc
	s_or_b64 s[90:91], vcc, s[90:91]
	s_andn2_b64 s[92:93], s[92:93], exec
	s_and_b64 vcc, s[94:95], exec
	s_or_b64 s[92:93], s[92:93], vcc
	s_andn2_b64 exec, exec, s[90:91]
	s_cbranch_execz .LBB4_795
.LBB4_791:                              ;   Parent Loop BB4_47 Depth=1
                                        ;     Parent Loop BB4_752 Depth=2
                                        ;       Parent Loop BB4_755 Depth=3
                                        ; =>      This Inner Loop Header: Depth=4
	s_add_i32 s36, s36, 1
	s_cmpk_lg_i32 s36, 0x2710
	s_cselect_b64 s[30:31], -1, 0
	s_and_b64 vcc, exec, s[30:31]
	s_cbranch_vccz .LBB4_793
; %bb.792:                              ;   in Loop: Header=BB4_791 Depth=4
	s_mov_b64 vcc, -1
	s_or_b64 s[94:95], s[94:95], exec
	s_and_saveexec_b64 s[34:35], s[30:31]
	s_cbranch_execz .LBB4_790
	s_branch .LBB4_794
.LBB4_793:                              ;   in Loop: Header=BB4_791 Depth=4
	s_trap 2
	ds_read_b64 v[4:5], v0
	s_andn2_b64 s[30:31], s[30:31], exec
	s_mov_b32 s36, 0
	s_waitcnt lgkmcnt(0)
	flat_load_dword v0, v[4:5] glc
	s_waitcnt vmcnt(0) lgkmcnt(0)
	buffer_wbinvl1_vol
	v_cmp_eq_u32_e32 vcc, 0, v0
	s_and_b64 vcc, vcc, exec
	s_or_b64 s[30:31], s[30:31], vcc
	s_mov_b64 vcc, -1
	s_or_b64 s[94:95], s[94:95], exec
	s_and_saveexec_b64 s[34:35], s[30:31]
	s_cbranch_execz .LBB4_790
.LBB4_794:                              ;   in Loop: Header=BB4_791 Depth=4
	s_sleep 1
	s_trap 2
	ds_read_b64 v[4:5], v0
	s_waitcnt lgkmcnt(0)
	s_andn2_b64 s[94:95], s[94:95], exec
	v_cmp_ge_u64_e32 vcc, v[4:5], v[12:13]
	s_orn2_b64 vcc, vcc, exec
	s_branch .LBB4_790
.LBB4_795:                              ;   in Loop: Header=BB4_755 Depth=3
	s_or_b64 exec, exec, s[90:91]
	s_and_saveexec_b64 s[90:91], s[92:93]
	s_xor_b64 s[90:91], exec, s[90:91]
	s_cbranch_execz .LBB4_797
; %bb.796:                              ;   in Loop: Header=BB4_755 Depth=3
	ds_write_b32 v0, v24
	s_trap 2
.LBB4_797:                              ;   in Loop: Header=BB4_755 Depth=3
	s_or_b64 exec, exec, s[88:89]
	;;#ASMSTART
	s_wakeup
	;;#ASMEND
.LBB4_798:                              ;   in Loop: Header=BB4_755 Depth=3
	s_or_b64 exec, exec, s[40:41]
.LBB4_799:                              ;   in Loop: Header=BB4_755 Depth=3
	s_andn2_saveexec_b64 s[28:29], s[28:29]
	s_cbranch_execz .LBB4_801
; %bb.800:                              ;   in Loop: Header=BB4_755 Depth=3
	s_waitcnt vmcnt(0) lgkmcnt(0)
	buffer_wbinvl1_vol
	s_barrier
.LBB4_801:                              ;   in Loop: Header=BB4_755 Depth=3
	s_or_b64 exec, exec, s[28:29]
.LBB4_802:                              ;   in Loop: Header=BB4_755 Depth=3
	s_or_b64 exec, exec, s[26:27]
	s_trap 2
	ds_read_b32 v0, v0
	v_and_b32_e32 v4, 0x4000, v59
	v_cmp_ne_u32_e32 vcc, 0, v4
	s_xor_b64 s[26:27], s[6:7], -1
	s_and_b64 s[28:29], s[26:27], vcc
	s_and_saveexec_b64 s[26:27], s[28:29]
	s_cbranch_execz .LBB4_821
; %bb.803:                              ;   in Loop: Header=BB4_755 Depth=3
	s_and_saveexec_b64 s[28:29], s[56:57]
	s_xor_b64 s[28:29], exec, s[28:29]
	s_cbranch_execz .LBB4_818
; %bb.804:                              ;   in Loop: Header=BB4_755 Depth=3
	s_and_saveexec_b64 s[40:41], s[16:17]
	s_cbranch_execz .LBB4_817
; %bb.805:                              ;   in Loop: Header=BB4_755 Depth=3
	s_mov_b64 s[90:91], exec
	v_mbcnt_lo_u32_b32 v4, s90, 0
	v_mbcnt_hi_u32_b32 v4, s91, v4
	v_cmp_eq_u32_e32 vcc, 0, v4
	s_waitcnt vmcnt(0) lgkmcnt(0)
	buffer_wbinvl1_vol
	s_and_saveexec_b64 s[88:89], vcc
	s_cbranch_execz .LBB4_807
; %bb.806:                              ;   in Loop: Header=BB4_755 Depth=3
	s_bcnt1_i32_b64 s90, s[90:91]
	v_mov_b32_e32 v4, s90
	v_mov_b32_e32 v5, v2
	ds_add_u64 v0, v[4:5]
	s_trap 2
.LBB4_807:                              ;   in Loop: Header=BB4_755 Depth=3
	s_or_b64 exec, exec, s[88:89]
	s_trap 2
	ds_read_b64 v[4:5], v0
	s_waitcnt lgkmcnt(0)
	v_add_co_u32_e32 v12, vcc, v12, v61
	v_addc_co_u32_e32 v13, vcc, 0, v13, vcc
	v_cmp_lt_u64_e32 vcc, v[4:5], v[12:13]
	s_and_saveexec_b64 s[88:89], vcc
	s_cbranch_execz .LBB4_816
; %bb.808:                              ;   in Loop: Header=BB4_755 Depth=3
	s_mov_b32 s36, 0
	s_mov_b64 s[90:91], 0
                                        ; implicit-def: $sgpr92_sgpr93
                                        ; implicit-def: $sgpr94_sgpr95
	s_branch .LBB4_810
.LBB4_809:                              ;   in Loop: Header=BB4_810 Depth=4
	s_or_b64 exec, exec, s[34:35]
	s_and_b64 vcc, exec, vcc
	s_or_b64 s[90:91], vcc, s[90:91]
	s_andn2_b64 s[92:93], s[92:93], exec
	s_and_b64 vcc, s[94:95], exec
	s_or_b64 s[92:93], s[92:93], vcc
	s_andn2_b64 exec, exec, s[90:91]
	s_cbranch_execz .LBB4_814
.LBB4_810:                              ;   Parent Loop BB4_47 Depth=1
                                        ;     Parent Loop BB4_752 Depth=2
                                        ;       Parent Loop BB4_755 Depth=3
                                        ; =>      This Inner Loop Header: Depth=4
	s_add_i32 s36, s36, 1
	s_cmpk_lg_i32 s36, 0x2710
	s_cselect_b64 s[30:31], -1, 0
	s_and_b64 vcc, exec, s[30:31]
	s_cbranch_vccz .LBB4_812
; %bb.811:                              ;   in Loop: Header=BB4_810 Depth=4
	s_mov_b64 vcc, -1
	s_or_b64 s[94:95], s[94:95], exec
	s_and_saveexec_b64 s[34:35], s[30:31]
	s_cbranch_execz .LBB4_809
	s_branch .LBB4_813
.LBB4_812:                              ;   in Loop: Header=BB4_810 Depth=4
	s_trap 2
	ds_read_b64 v[4:5], v0
	s_andn2_b64 s[30:31], s[30:31], exec
	s_mov_b32 s36, 0
	s_waitcnt lgkmcnt(0)
	flat_load_dword v4, v[4:5] glc
	s_waitcnt vmcnt(0) lgkmcnt(0)
	buffer_wbinvl1_vol
	v_cmp_eq_u32_e32 vcc, 0, v4
	s_and_b64 vcc, vcc, exec
	s_or_b64 s[30:31], s[30:31], vcc
	s_mov_b64 vcc, -1
	s_or_b64 s[94:95], s[94:95], exec
	s_and_saveexec_b64 s[34:35], s[30:31]
	s_cbranch_execz .LBB4_809
.LBB4_813:                              ;   in Loop: Header=BB4_810 Depth=4
	s_sleep 1
	s_trap 2
	ds_read_b64 v[4:5], v0
	s_waitcnt lgkmcnt(0)
	s_andn2_b64 s[94:95], s[94:95], exec
	v_cmp_ge_u64_e32 vcc, v[4:5], v[12:13]
	s_orn2_b64 vcc, vcc, exec
	s_branch .LBB4_809
.LBB4_814:                              ;   in Loop: Header=BB4_755 Depth=3
	s_or_b64 exec, exec, s[90:91]
	s_and_saveexec_b64 s[90:91], s[92:93]
	s_xor_b64 s[90:91], exec, s[90:91]
	s_cbranch_execz .LBB4_816
; %bb.815:                              ;   in Loop: Header=BB4_755 Depth=3
	ds_write_b32 v0, v24
	s_trap 2
.LBB4_816:                              ;   in Loop: Header=BB4_755 Depth=3
	s_or_b64 exec, exec, s[88:89]
	;;#ASMSTART
	s_wakeup
	;;#ASMEND
.LBB4_817:                              ;   in Loop: Header=BB4_755 Depth=3
	s_or_b64 exec, exec, s[40:41]
.LBB4_818:                              ;   in Loop: Header=BB4_755 Depth=3
	s_andn2_saveexec_b64 s[28:29], s[28:29]
	s_cbranch_execz .LBB4_820
; %bb.819:                              ;   in Loop: Header=BB4_755 Depth=3
	s_waitcnt vmcnt(0) lgkmcnt(0)
	buffer_wbinvl1_vol
	s_barrier
.LBB4_820:                              ;   in Loop: Header=BB4_755 Depth=3
	s_or_b64 exec, exec, s[28:29]
.LBB4_821:                              ;   in Loop: Header=BB4_755 Depth=3
	s_or_b64 exec, exec, s[26:27]
	s_trap 2
	s_waitcnt lgkmcnt(0)
	ds_read_b64 v[40:41], v0
	s_waitcnt lgkmcnt(0)
	v_cmp_eq_u64_e32 vcc, 0, v[40:41]
	s_cbranch_vccnz .LBB4_830
; %bb.822:                              ;   in Loop: Header=BB4_755 Depth=3
	s_trap 2
	s_waitcnt vmcnt(0)
	ds_read_b64 v[42:43], v0
	s_waitcnt lgkmcnt(0)
	v_cmp_eq_u64_e32 vcc, 0, v[42:43]
	s_cbranch_vccnz .LBB4_835
; %bb.823:                              ;   in Loop: Header=BB4_755 Depth=3
	s_trap 2
	ds_read_b64 v[44:45], v0
	v_cmp_eq_u32_e32 vcc, 0, v0
	v_cndmask_b32_e32 v51, 0, v50, vcc
	v_lshlrev_b32_e32 v53, 2, v51
	s_waitcnt lgkmcnt(0)
	v_cmp_ne_u64_e32 vcc, 0, v[44:45]
	s_cbranch_vccz .LBB4_836
; %bb.824:                              ;   in Loop: Header=BB4_755 Depth=3
	s_mov_b64 s[28:29], -1
	s_and_saveexec_b64 s[26:27], s[20:21]
	s_cbranch_execz .LBB4_826
; %bb.825:                              ;   in Loop: Header=BB4_755 Depth=3
	ds_read_b32 v0, v0 offset:720
	s_waitcnt lgkmcnt(0)
	v_and_b32_e32 v0, 15, v0
	v_cmp_eq_u32_e32 vcc, 0, v0
	s_orn2_b64 s[28:29], vcc, exec
.LBB4_826:                              ;   in Loop: Header=BB4_755 Depth=3
	s_or_b64 exec, exec, s[26:27]
	s_and_saveexec_b64 s[26:27], s[22:23]
	s_cbranch_execz .LBB4_828
; %bb.827:                              ;   in Loop: Header=BB4_755 Depth=3
	ds_read_b32 v0, v0 offset:784
	s_waitcnt lgkmcnt(0)
	v_and_b32_e32 v0, 15, v0
	v_cmp_eq_u32_e32 vcc, 0, v0
	s_and_b64 s[40:41], s[28:29], vcc
	s_andn2_b64 s[28:29], s[28:29], exec
	s_and_b64 s[40:41], s[40:41], exec
	s_or_b64 s[28:29], s[28:29], s[40:41]
.LBB4_828:                              ;   in Loop: Header=BB4_755 Depth=3
	s_or_b64 exec, exec, s[26:27]
	s_xor_b64 s[28:29], s[28:29], -1
	v_cndmask_b32_e64 v0, 0, 1, s[28:29]
	s_mov_b64 s[26:27], -1
	v_mov_b32_e32 v38, 0
	v_cmp_ne_u32_e32 vcc, 0, v0
	v_mov_b32_e32 v39, v53
	v_mov_b32_e32 v0, v58
	;; [unrolled: 1-line block ×3, first 2 shown]
	s_cbranch_vccz .LBB4_837
; %bb.829:                              ;   in Loop: Header=BB4_755 Depth=3
	s_and_saveexec_b64 s[40:41], s[26:27]
	s_cbranch_execnz .LBB4_852
	s_branch .LBB4_862
.LBB4_830:                              ;   in Loop: Header=BB4_755 Depth=3
	s_mov_b64 s[26:27], 0
	s_and_saveexec_b64 s[28:29], s[10:11]
	s_cbranch_execnz .LBB4_893
.LBB4_831:                              ;   in Loop: Header=BB4_755 Depth=3
	s_or_b64 exec, exec, s[28:29]
                                        ; implicit-def: $vgpr0
	s_and_saveexec_b64 s[28:29], s[24:25]
	s_xor_b64 s[28:29], exec, s[28:29]
	s_cbranch_execz .LBB4_911
.LBB4_832:                              ;   in Loop: Header=BB4_755 Depth=3
	v_and_b32_e32 v4, 16, v59
	v_cmp_ne_u32_e32 vcc, 0, v4
	v_and_b32_e32 v0, 16, v59
	s_and_b64 s[40:41], vcc, s[26:27]
	s_and_saveexec_b64 s[26:27], s[40:41]
	s_cbranch_execz .LBB4_834
; %bb.833:                              ;   in Loop: Header=BB4_755 Depth=3
	v_mov_b32_e32 v0, 1
	s_waitcnt vmcnt(0) lgkmcnt(0)
	buffer_wbinvl1_vol
.LBB4_834:                              ;   in Loop: Header=BB4_755 Depth=3
	s_or_b64 exec, exec, s[26:27]
	s_andn2_saveexec_b64 s[26:27], s[28:29]
	s_cbranch_execz .LBB4_930
	s_branch .LBB4_912
.LBB4_835:                              ;   in Loop: Header=BB4_755 Depth=3
	s_mov_b64 s[26:27], 0
	s_branch .LBB4_892
.LBB4_836:                              ;   in Loop: Header=BB4_755 Depth=3
	s_cbranch_execnz .LBB4_863
	s_branch .LBB4_891
.LBB4_837:                              ;   in Loop: Header=BB4_755 Depth=3
	v_ashrrev_i32_e32 v0, 31, v53
	v_lshrrev_b32_e32 v0, 21, v0
	v_add_u32_e32 v0, v53, v0
	v_ashrrev_i32_e32 v0, 11, v0
	v_sub_u32_e32 v34, v0, v32
	v_cmp_lt_i32_e32 vcc, 0, v34
	s_and_saveexec_b64 s[26:27], vcc
	s_cbranch_execz .LBB4_841
; %bb.838:                              ;   in Loop: Header=BB4_755 Depth=3
	buffer_load_dword v4, off, s[0:3], s33 offset:124 ; 4-byte Folded Reload
	buffer_load_dword v5, off, s[0:3], s33 offset:128 ; 4-byte Folded Reload
	s_mov_b64 s[28:29], 0
	s_waitcnt vmcnt(0)
	v_add_co_u32_e32 v8, vcc, v40, v4
	v_addc_co_u32_e32 v9, vcc, v41, v5, vcc
	v_add_co_u32_e32 v10, vcc, v42, v4
	v_addc_co_u32_e32 v11, vcc, v43, v5, vcc
	;; [unrolled: 2-line block ×3, first 2 shown]
.LBB4_839:                              ;   Parent Loop BB4_47 Depth=1
                                        ;     Parent Loop BB4_752 Depth=2
                                        ;       Parent Loop BB4_755 Depth=3
                                        ; =>      This Inner Loop Header: Depth=4
	global_load_dwordx4 v[4:7], v[8:9], off glc slc
	global_load_dwordx4 v[16:19], v[8:9], off offset:1024 glc slc
	v_add_co_u32_e32 v8, vcc, v8, v28
	v_addc_co_u32_e32 v9, vcc, 0, v9, vcc
	v_sub_u32_e32 v34, v34, v61
	v_cmp_gt_i32_e32 vcc, 1, v34
	s_or_b64 s[28:29], vcc, s[28:29]
	s_waitcnt vmcnt(1)
	global_store_dwordx4 v[10:11], v[4:7], off glc slc
	s_waitcnt vmcnt(1)
	global_store_dwordx4 v[10:11], v[16:19], off offset:1024 glc slc
	global_store_dwordx4 v[46:47], v[4:7], off glc slc
	global_store_dwordx4 v[46:47], v[16:19], off offset:1024 glc slc
	v_add_co_u32_e32 v10, vcc, v10, v28
	v_addc_co_u32_e32 v11, vcc, 0, v11, vcc
	v_add_co_u32_e32 v46, vcc, v46, v28
	v_addc_co_u32_e32 v47, vcc, 0, v47, vcc
	s_andn2_b64 exec, exec, s[28:29]
	s_cbranch_execnz .LBB4_839
; %bb.840:                              ;   in Loop: Header=BB4_755 Depth=3
	s_or_b64 exec, exec, s[28:29]
	buffer_load_dword v18, off, s[0:3], s33 offset:80 ; 4-byte Folded Reload
	buffer_load_dword v46, off, s[0:3], s33 offset:88 ; 4-byte Folded Reload
	;; [unrolled: 1-line block ×3, first 2 shown]
	v_add_u32_e32 v47, 0xffffff00, v15
.LBB4_841:                              ;   in Loop: Header=BB4_755 Depth=3
	s_or_b64 exec, exec, s[26:27]
	v_lshlrev_b32_e32 v56, 11, v0
	v_cmp_ne_u32_e32 vcc, v53, v56
	s_mov_b64 s[26:27], 0
	v_mov_b32_e32 v38, 0
                                        ; implicit-def: $vgpr39
                                        ; implicit-def: $vgpr0
                                        ; implicit-def: $vgpr8
	s_and_saveexec_b64 s[88:89], vcc
	s_cbranch_execz .LBB4_851
; %bb.842:                              ;   in Loop: Header=BB4_755 Depth=3
	buffer_load_dword v5, off, s[0:3], s33 offset:100 ; 4-byte Folded Reload
	v_lshlrev_b32_e32 v0, 6, v34
	v_sub_u32_e32 v4, v53, v56
	s_waitcnt vmcnt(0)
	v_sub_u32_e32 v0, v5, v0
	v_ashrrev_i32_e32 v5, 31, v0
	v_lshrrev_b32_e32 v5, 26, v5
	v_add_u32_e32 v5, v0, v5
	v_ashrrev_i32_e32 v6, 6, v5
	v_and_b32_e32 v5, 0xffffffc0, v5
	v_sub_u32_e32 v34, v0, v5
	v_ashrrev_i32_e32 v5, 31, v4
	v_lshrrev_b32_e32 v5, 22, v5
	v_add_u32_e32 v5, v4, v5
	v_and_b32_e32 v35, 0xfffffc00, v5
	v_lshlrev_b32_e32 v0, 4, v34
	v_sub_u32_e32 v58, v4, v35
	v_lshl_add_u32 v8, v6, 10, v0
	v_ashrrev_i32_e32 v7, 10, v5
	v_cmp_lt_i32_e64 s[26:27], 15, v58
	v_sub_u32_e32 v0, v4, v8
	v_addc_co_u32_e64 v4, vcc, 0, v7, s[26:27]
	v_sub_u32_e32 v57, v4, v6
	v_cmp_lt_i32_e32 vcc, 15, v0
	s_and_saveexec_b64 s[90:91], vcc
	s_cbranch_execz .LBB4_848
; %bb.843:                              ;   in Loop: Header=BB4_755 Depth=3
	v_add_u32_e32 v4, v8, v56
	v_ashrrev_i32_e32 v5, 31, v4
	v_add_co_u32_e32 v46, vcc, v4, v40
	v_addc_co_u32_e32 v47, vcc, v5, v41, vcc
	v_add_co_u32_e32 v38, vcc, v4, v42
	v_addc_co_u32_e32 v39, vcc, v5, v43, vcc
	;; [unrolled: 2-line block ×3, first 2 shown]
	s_mov_b64 s[92:93], 0
.LBB4_844:                              ;   Parent Loop BB4_47 Depth=1
                                        ;     Parent Loop BB4_752 Depth=2
                                        ;       Parent Loop BB4_755 Depth=3
                                        ; =>      This Loop Header: Depth=4
                                        ;           Child Loop BB4_845 Depth 5
	global_load_dwordx4 v[8:11], v[46:47], off glc slc
	s_mov_b64 s[94:95], -1
	s_mov_b64 s[30:31], 0
	s_waitcnt vmcnt(0)
.LBB4_845:                              ;   Parent Loop BB4_47 Depth=1
                                        ;     Parent Loop BB4_752 Depth=2
                                        ;       Parent Loop BB4_755 Depth=3
                                        ;         Parent Loop BB4_844 Depth=4
                                        ; =>        This Inner Loop Header: Depth=5
	s_cmp_eq_u32 s30, 1
	s_cselect_b64 s[28:29], -1, 0
	v_cndmask_b32_e64 v5, v39, v49, s[28:29]
	v_cndmask_b32_e64 v4, v38, v48, s[28:29]
	global_store_dwordx4 v[4:5], v[8:11], off glc slc
	v_add_co_u32_e32 v4, vcc, 0x400, v4
	s_cmp_eq_u32 s30, 0
	v_addc_co_u32_e32 v5, vcc, 0, v5, vcc
	s_cselect_b64 vcc, -1, 0
	s_and_b64 s[40:41], exec, s[94:95]
	s_mov_b64 s[30:31], 1
	v_cndmask_b32_e64 v48, v48, v4, s[28:29]
	s_mov_b64 s[94:95], 0
	v_cndmask_b32_e64 v49, v49, v5, s[28:29]
	v_cndmask_b32_e32 v39, v39, v5, vcc
	v_cndmask_b32_e32 v38, v38, v4, vcc
	s_mov_b64 vcc, s[40:41]
	s_cbranch_vccnz .LBB4_845
; %bb.846:                              ;   in Loop: Header=BB4_844 Depth=4
	buffer_load_dword v4, off, s[0:3], s33 offset:76 ; 4-byte Folded Reload
	v_add_co_u32_e32 v38, vcc, v38, v25
	v_addc_co_u32_e32 v39, vcc, v39, v18, vcc
	v_add_co_u32_e32 v48, vcc, v48, v25
	v_addc_co_u32_e32 v49, vcc, v49, v18, vcc
	v_add_co_u32_e32 v46, vcc, v19, v46
	v_sub_u32_e32 v0, v0, v14
	v_sub_u32_e32 v57, v57, v61
	s_waitcnt vmcnt(0)
	v_addc_co_u32_e32 v47, vcc, v4, v47, vcc
	v_cmp_gt_i32_e32 vcc, 16, v0
	s_or_b64 s[92:93], vcc, s[92:93]
	s_andn2_b64 exec, exec, s[92:93]
	s_cbranch_execnz .LBB4_844
; %bb.847:                              ;   in Loop: Header=BB4_755 Depth=3
	s_or_b64 exec, exec, s[92:93]
	buffer_load_dword v46, off, s[0:3], s33 offset:88 ; 4-byte Folded Reload
	v_add_u32_e32 v47, 0xffffff00, v15
	v_ashrrev_i32_e32 v49, 31, v1
.LBB4_848:                              ;   in Loop: Header=BB4_755 Depth=3
	s_or_b64 exec, exec, s[90:91]
	v_and_b32_e32 v9, 12, v53
	v_cndmask_b32_e64 v39, v58, v9, s[26:27]
	v_mov_b32_e32 v38, 0
	v_cmp_ne_u32_e32 vcc, 0, v39
	s_mov_b64 s[40:41], 0
                                        ; implicit-def: $vgpr0
                                        ; implicit-def: $vgpr8
	s_and_saveexec_b64 s[28:29], vcc
	s_cbranch_execz .LBB4_850
; %bb.849:                              ;   in Loop: Header=BB4_755 Depth=3
	v_sub_u32_e32 v0, v58, v9
	v_cndmask_b32_e64 v0, 0, v0, s[26:27]
	v_cmp_lt_i32_e32 vcc, 0, v57
	v_add3_u32 v38, v35, v56, v0
	v_cndmask_b32_e32 v0, 0, v61, vcc
	v_sub_u32_e32 v0, v0, v57
	v_lshl_add_u32 v0, v0, 6, v34
	v_ashrrev_i32_e32 v4, 31, v0
	v_lshrrev_b32_e32 v4, 26, v4
	v_add_u32_e32 v4, v0, v4
	v_ashrrev_i32_e32 v8, 6, v4
	s_mov_b64 s[40:41], exec
.LBB4_850:                              ;   in Loop: Header=BB4_755 Depth=3
	s_or_b64 exec, exec, s[28:29]
	buffer_load_dword v58, off, s[0:3], s33 offset:156 ; 4-byte Folded Reload
	s_and_b64 s[26:27], s[40:41], exec
.LBB4_851:                              ;   in Loop: Header=BB4_755 Depth=3
	s_or_b64 exec, exec, s[88:89]
	buffer_load_dword v56, off, s[0:3], s33 offset:140 ; 4-byte Folded Reload
	buffer_load_dword v57, off, s[0:3], s33 offset:144 ; 4-byte Folded Reload
	s_and_saveexec_b64 s[40:41], s[26:27]
	s_cbranch_execz .LBB4_862
.LBB4_852:                              ;   in Loop: Header=BB4_755 Depth=3
	v_ashrrev_i32_e32 v4, 31, v39
	v_lshrrev_b32_e32 v4, 22, v4
	v_add_u32_e32 v4, v39, v4
	v_ashrrev_i32_e32 v48, 10, v4
	v_sub_u32_e32 v34, v48, v8
	v_ashrrev_i32_e32 v4, 31, v0
	v_cmp_lt_i32_e32 vcc, 0, v34
	v_lshrrev_b32_e32 v35, 26, v4
	s_and_saveexec_b64 s[26:27], vcc
	s_cbranch_execz .LBB4_856
; %bb.853:                              ;   in Loop: Header=BB4_755 Depth=3
	v_add_u32_e32 v4, v0, v35
	v_and_b32_e32 v4, 0x3fffffc0, v4
	v_sub_u32_e32 v4, v0, v4
	v_lshlrev_b32_e32 v4, 2, v4
	v_lshlrev_b32_e32 v5, 10, v8
	v_add3_u32 v4, v4, v38, v5
	v_ashrrev_i32_e32 v5, 31, v4
	v_add_co_u32_e32 v8, vcc, v4, v40
	v_addc_co_u32_e32 v9, vcc, v5, v41, vcc
	v_add_co_u32_e32 v10, vcc, v4, v42
	v_addc_co_u32_e32 v11, vcc, v5, v43, vcc
	s_waitcnt vmcnt(0)
	v_add_co_u32_e32 v46, vcc, v4, v44
	v_addc_co_u32_e32 v47, vcc, v5, v45, vcc
	s_mov_b64 s[28:29], 0
.LBB4_854:                              ;   Parent Loop BB4_47 Depth=1
                                        ;     Parent Loop BB4_752 Depth=2
                                        ;       Parent Loop BB4_755 Depth=3
                                        ; =>      This Inner Loop Header: Depth=4
	flat_load_dword v4, v[8:9] glc slc
	flat_load_dword v5, v[8:9] offset:256 glc slc
	flat_load_dword v6, v[8:9] offset:512 glc slc
	;; [unrolled: 1-line block ×3, first 2 shown]
	v_add_co_u32_e32 v8, vcc, v8, v14
	v_addc_co_u32_e32 v9, vcc, 0, v9, vcc
	v_sub_u32_e32 v34, v34, v61
	v_cmp_gt_i32_e32 vcc, 1, v34
	s_or_b64 s[28:29], vcc, s[28:29]
	s_waitcnt vmcnt(0) lgkmcnt(0)
	flat_store_dword v[10:11], v4 glc slc
	flat_store_dword v[10:11], v5 offset:256 glc slc
	flat_store_dword v[10:11], v6 offset:512 glc slc
	flat_store_dword v[10:11], v7 offset:768 glc slc
	flat_store_dword v[46:47], v4 glc slc
	flat_store_dword v[46:47], v5 offset:256 glc slc
	flat_store_dword v[46:47], v6 offset:512 glc slc
	;; [unrolled: 1-line block ×3, first 2 shown]
	v_add_co_u32_e32 v10, vcc, v10, v14
	v_addc_co_u32_e32 v11, vcc, 0, v11, vcc
	v_add_co_u32_e32 v46, vcc, v46, v14
	v_addc_co_u32_e32 v47, vcc, 0, v47, vcc
	s_andn2_b64 exec, exec, s[28:29]
	s_cbranch_execnz .LBB4_854
; %bb.855:                              ;   in Loop: Header=BB4_755 Depth=3
	s_or_b64 exec, exec, s[28:29]
	buffer_load_dword v46, off, s[0:3], s33 offset:88 ; 4-byte Folded Reload
	v_add_u32_e32 v47, 0xffffff00, v15
.LBB4_856:                              ;   in Loop: Header=BB4_755 Depth=3
	s_or_b64 exec, exec, s[26:27]
	buffer_load_dword v6, off, s[0:3], s33 offset:92 ; 4-byte Folded Reload
	buffer_load_dword v7, off, s[0:3], s33 offset:96 ; 4-byte Folded Reload
	v_lshlrev_b32_e32 v8, 10, v48
	v_cmp_ne_u32_e32 vcc, v39, v8
	s_and_b64 s[26:27], exec, vcc
	s_mov_b64 exec, s[26:27]
	s_cbranch_execz .LBB4_862
; %bb.857:                              ;   in Loop: Header=BB4_755 Depth=3
	v_add_u32_e32 v4, v0, v35
	v_and_b32_e32 v4, 0xffffffc0, v4
	v_sub_u32_e32 v0, v0, v4
	v_lshlrev_b32_e32 v4, 6, v34
	v_sub_u32_e32 v0, v0, v4
	v_ashrrev_i32_e32 v4, 31, v0
	v_lshrrev_b32_e32 v4, 26, v4
	v_add_u32_e32 v4, v0, v4
	v_and_b32_e32 v5, 0x3fffffc0, v4
	v_sub_u32_e32 v0, v0, v5
	v_lshlrev_b32_e32 v4, 2, v4
	v_and_b32_e32 v4, 0xffffff00, v4
	v_lshlrev_b32_e32 v0, 2, v0
	v_add3_u32 v8, v4, v0, v8
	v_sub_u32_e32 v0, v39, v8
	v_cmp_lt_i32_e32 vcc, 3, v0
	s_and_b64 exec, exec, vcc
	s_cbranch_execz .LBB4_862
; %bb.858:                              ;   in Loop: Header=BB4_755 Depth=3
	v_add_u32_e32 v4, v8, v38
	v_ashrrev_i32_e32 v5, 31, v4
	v_add_co_u32_e32 v8, vcc, v4, v40
	v_addc_co_u32_e32 v9, vcc, v5, v41, vcc
	v_add_co_u32_e32 v10, vcc, v4, v42
	v_addc_co_u32_e32 v11, vcc, v5, v43, vcc
	;; [unrolled: 2-line block ×3, first 2 shown]
	s_mov_b64 s[88:89], 0
.LBB4_859:                              ;   Parent Loop BB4_47 Depth=1
                                        ;     Parent Loop BB4_752 Depth=2
                                        ;       Parent Loop BB4_755 Depth=3
                                        ; =>      This Loop Header: Depth=4
                                        ;           Child Loop BB4_860 Depth 5
	flat_load_dword v38, v[8:9] glc slc
	s_mov_b64 s[90:91], -1
	s_mov_b64 s[92:93], 0
	s_waitcnt vmcnt(0)
.LBB4_860:                              ;   Parent Loop BB4_47 Depth=1
                                        ;     Parent Loop BB4_752 Depth=2
                                        ;       Parent Loop BB4_755 Depth=3
                                        ;         Parent Loop BB4_859 Depth=4
                                        ; =>        This Inner Loop Header: Depth=5
	s_cmp_eq_u32 s92, 1
	s_cselect_b64 s[26:27], -1, 0
	v_cndmask_b32_e64 v5, v11, v35, s[26:27]
	v_cndmask_b32_e64 v4, v10, v34, s[26:27]
	s_waitcnt lgkmcnt(0)
	flat_store_dword v[4:5], v38 glc slc
	v_add_co_u32_e32 v4, vcc, 0x100, v4
	s_cmp_eq_u32 s92, 0
	v_addc_co_u32_e32 v5, vcc, 0, v5, vcc
	s_cselect_b64 vcc, -1, 0
	s_and_b64 s[28:29], exec, s[90:91]
	s_mov_b64 s[92:93], 1
	v_cndmask_b32_e64 v34, v34, v4, s[26:27]
	s_mov_b64 s[90:91], 0
	v_cndmask_b32_e64 v35, v35, v5, s[26:27]
	v_cndmask_b32_e32 v11, v11, v5, vcc
	v_cndmask_b32_e32 v10, v10, v4, vcc
	s_mov_b64 vcc, s[28:29]
	s_cbranch_vccnz .LBB4_860
; %bb.861:                              ;   in Loop: Header=BB4_859 Depth=4
	v_add_co_u32_e32 v10, vcc, v10, v47
	v_addc_co_u32_e32 v11, vcc, v11, v46, vcc
	v_add_co_u32_e32 v34, vcc, v34, v47
	v_addc_co_u32_e32 v35, vcc, v35, v46, vcc
	v_sub_u32_e32 v0, v0, v15
	v_cmp_gt_i32_e32 vcc, 4, v0
	s_or_b64 s[88:89], vcc, s[88:89]
	v_add_co_u32_e32 v8, vcc, v6, v8
	v_addc_co_u32_e32 v9, vcc, v7, v9, vcc
	s_andn2_b64 exec, exec, s[88:89]
	s_cbranch_execnz .LBB4_859
.LBB4_862:                              ;   in Loop: Header=BB4_755 Depth=3
	s_or_b64 exec, exec, s[40:41]
	s_branch .LBB4_891
.LBB4_863:                              ;   in Loop: Header=BB4_755 Depth=3
	s_mov_b64 s[26:27], -1
	s_and_saveexec_b64 s[28:29], s[20:21]
	s_cbranch_execz .LBB4_865
; %bb.864:                              ;   in Loop: Header=BB4_755 Depth=3
	ds_read_b32 v0, v0 offset:720
	s_waitcnt lgkmcnt(0)
	v_and_b32_e32 v0, 15, v0
	v_cmp_eq_u32_e32 vcc, 0, v0
	s_orn2_b64 s[26:27], vcc, exec
.LBB4_865:                              ;   in Loop: Header=BB4_755 Depth=3
	s_or_b64 exec, exec, s[28:29]
	s_and_saveexec_b64 s[28:29], s[18:19]
	s_cbranch_execz .LBB4_867
; %bb.866:                              ;   in Loop: Header=BB4_755 Depth=3
	ds_read_b32 v0, v0 offset:784
	s_waitcnt lgkmcnt(0)
	v_and_b32_e32 v0, 15, v0
	v_cmp_eq_u32_e32 vcc, 0, v0
	s_and_b64 s[40:41], s[26:27], vcc
	s_andn2_b64 s[26:27], s[26:27], exec
	s_and_b64 s[40:41], s[40:41], exec
	s_or_b64 s[26:27], s[26:27], s[40:41]
.LBB4_867:                              ;   in Loop: Header=BB4_755 Depth=3
	s_or_b64 exec, exec, s[28:29]
	s_xor_b64 s[26:27], s[26:27], -1
	v_cndmask_b32_e64 v4, 0, 1, s[26:27]
	s_mov_b64 s[40:41], -1
	v_mov_b32_e32 v0, 0
	v_cmp_ne_u32_e32 vcc, 0, v4
	s_cbranch_vccz .LBB4_869
; %bb.868:                              ;   in Loop: Header=BB4_755 Depth=3
	s_waitcnt vmcnt(0)
	v_mov_b32_e32 v38, v58
	v_mov_b32_e32 v9, v32
	s_and_saveexec_b64 s[26:27], s[40:41]
	s_cbranch_execnz .LBB4_882
	s_branch .LBB4_890
.LBB4_869:                              ;   in Loop: Header=BB4_755 Depth=3
	v_ashrrev_i32_e32 v0, 31, v53
	v_lshrrev_b32_e32 v0, 20, v0
	v_add_u32_e32 v0, v53, v0
	v_ashrrev_i32_e32 v0, 12, v0
	v_sub_u32_e32 v34, v0, v32
	v_cmp_lt_i32_e32 vcc, 0, v34
	s_and_saveexec_b64 s[26:27], vcc
	s_cbranch_execz .LBB4_873
; %bb.870:                              ;   in Loop: Header=BB4_755 Depth=3
	v_mov_b32_e32 v8, v42
	v_mov_b32_e32 v10, v40
	s_mov_b64 s[28:29], 0
	v_mov_b32_e32 v9, v43
	v_mov_b32_e32 v11, v41
.LBB4_871:                              ;   Parent Loop BB4_47 Depth=1
                                        ;     Parent Loop BB4_752 Depth=2
                                        ;       Parent Loop BB4_755 Depth=3
                                        ; =>      This Inner Loop Header: Depth=4
	v_add_co_u32_e32 v31, vcc, v1, v10
	v_addc_co_u32_e32 v32, vcc, v49, v11, vcc
	global_load_dwordx4 v[4:7], v[31:32], off glc slc
	global_load_dwordx4 v[16:19], v[31:32], off offset:1024 glc slc
	global_load_dwordx4 v[22:25], v[31:32], off offset:2048 glc slc
	global_load_dwordx4 v[44:47], v[31:32], off offset:3072 glc slc
	v_add_co_u32_e32 v31, vcc, v1, v8
	v_addc_co_u32_e32 v32, vcc, v49, v9, vcc
	v_add_co_u32_e32 v10, vcc, v10, v62
	v_addc_co_u32_e32 v11, vcc, 0, v11, vcc
	v_add_co_u32_e32 v8, vcc, v8, v62
	v_sub_u32_e32 v34, v34, v61
	v_addc_co_u32_e32 v9, vcc, 0, v9, vcc
	v_cmp_gt_i32_e32 vcc, 1, v34
	s_or_b64 s[28:29], vcc, s[28:29]
	s_waitcnt vmcnt(0)
	global_store_dwordx4 v[31:32], v[4:7], off glc slc
	global_store_dwordx4 v[31:32], v[16:19], off offset:1024 glc slc
	global_store_dwordx4 v[31:32], v[22:25], off offset:2048 glc slc
	;; [unrolled: 1-line block ×3, first 2 shown]
	s_andn2_b64 exec, exec, s[28:29]
	s_cbranch_execnz .LBB4_871
; %bb.872:                              ;   in Loop: Header=BB4_755 Depth=3
	s_or_b64 exec, exec, s[28:29]
	buffer_load_dword v32, off, s[0:3], s33 offset:104 ; 4-byte Folded Reload
	buffer_load_dword v18, off, s[0:3], s33 offset:80 ; 4-byte Folded Reload
	;; [unrolled: 1-line block ×4, first 2 shown]
	v_mov_b32_e32 v24, 1
	v_mov_b32_e32 v31, 0x90
	;; [unrolled: 1-line block ×4, first 2 shown]
	v_add_u32_e32 v25, 0xfffffc00, v14
	v_add_u32_e32 v47, 0xffffff00, v15
.LBB4_873:                              ;   in Loop: Header=BB4_755 Depth=3
	s_or_b64 exec, exec, s[26:27]
	v_lshlrev_b32_e32 v8, 12, v0
	v_cmp_ne_u32_e32 vcc, v53, v8
	s_mov_b64 s[40:41], 0
	v_mov_b32_e32 v0, 0
                                        ; implicit-def: $vgpr38
                                        ; implicit-def: $vgpr9
	s_and_saveexec_b64 s[28:29], vcc
	s_cbranch_execz .LBB4_881
; %bb.874:                              ;   in Loop: Header=BB4_755 Depth=3
	buffer_load_dword v5, off, s[0:3], s33 offset:100 ; 4-byte Folded Reload
	v_lshlrev_b32_e32 v0, 6, v34
	v_sub_u32_e32 v4, v53, v8
	s_waitcnt vmcnt(0)
	v_sub_u32_e32 v0, v5, v0
	v_ashrrev_i32_e32 v5, 31, v0
	v_lshrrev_b32_e32 v5, 26, v5
	v_add_u32_e32 v5, v0, v5
	v_ashrrev_i32_e32 v6, 6, v5
	v_and_b32_e32 v5, 0xffffffc0, v5
	v_sub_u32_e32 v10, v0, v5
	v_ashrrev_i32_e32 v5, 31, v4
	v_lshrrev_b32_e32 v5, 22, v5
	v_add_u32_e32 v5, v4, v5
	v_and_b32_e32 v11, 0xfffffc00, v5
	v_lshlrev_b32_e32 v0, 4, v10
	v_sub_u32_e32 v35, v4, v11
	v_lshl_add_u32 v9, v6, 10, v0
	v_ashrrev_i32_e32 v7, 10, v5
	v_cmp_lt_i32_e32 vcc, 15, v35
	v_sub_u32_e32 v0, v4, v9
	v_addc_co_u32_e64 v4, s[26:27], 0, v7, vcc
	v_sub_u32_e32 v34, v4, v6
	v_cmp_lt_i32_e64 s[26:27], 15, v0
	s_and_saveexec_b64 s[40:41], s[26:27]
	s_cbranch_execz .LBB4_878
; %bb.875:                              ;   in Loop: Header=BB4_755 Depth=3
	v_add_u32_e32 v9, v9, v8
	v_ashrrev_i32_e32 v38, 31, v9
	s_mov_b64 s[88:89], 0
.LBB4_876:                              ;   Parent Loop BB4_47 Depth=1
                                        ;     Parent Loop BB4_752 Depth=2
                                        ;       Parent Loop BB4_755 Depth=3
                                        ; =>      This Inner Loop Header: Depth=4
	v_add_co_u32_e64 v4, s[26:27], v40, v9
	v_addc_co_u32_e64 v5, s[26:27], v41, v38, s[26:27]
	global_load_dwordx4 v[4:7], v[4:5], off glc slc
	v_add_co_u32_e64 v16, s[26:27], v42, v9
	v_addc_co_u32_e64 v17, s[26:27], v43, v38, s[26:27]
	v_add_co_u32_e64 v9, s[26:27], v9, v14
	v_sub_u32_e32 v0, v0, v14
	v_addc_co_u32_e64 v38, s[26:27], 0, v38, s[26:27]
	v_cmp_gt_i32_e64 s[26:27], 16, v0
	v_sub_u32_e32 v34, v34, v61
	s_or_b64 s[88:89], s[26:27], s[88:89]
	s_waitcnt vmcnt(0)
	global_store_dwordx4 v[16:17], v[4:7], off glc slc
	s_andn2_b64 exec, exec, s[88:89]
	s_cbranch_execnz .LBB4_876
; %bb.877:                              ;   in Loop: Header=BB4_755 Depth=3
	s_or_b64 exec, exec, s[88:89]
.LBB4_878:                              ;   in Loop: Header=BB4_755 Depth=3
	s_or_b64 exec, exec, s[40:41]
	v_and_b32_e32 v39, 12, v53
	v_cndmask_b32_e32 v53, v35, v39, vcc
	v_mov_b32_e32 v0, 0
	v_cmp_ne_u32_e64 s[26:27], 0, v53
	s_mov_b64 s[88:89], 0
                                        ; implicit-def: $vgpr38
                                        ; implicit-def: $vgpr9
	s_and_saveexec_b64 s[40:41], s[26:27]
	s_cbranch_execz .LBB4_880
; %bb.879:                              ;   in Loop: Header=BB4_755 Depth=3
	v_sub_u32_e32 v0, v35, v39
	v_cndmask_b32_e32 v0, 0, v0, vcc
	v_cmp_lt_i32_e32 vcc, 0, v34
	v_cndmask_b32_e32 v4, 0, v61, vcc
	v_sub_u32_e32 v4, v4, v34
	v_lshl_add_u32 v38, v4, 6, v10
	v_ashrrev_i32_e32 v4, 31, v38
	v_lshrrev_b32_e32 v4, 26, v4
	v_add_u32_e32 v4, v38, v4
	v_add3_u32 v0, v11, v8, v0
	v_ashrrev_i32_e32 v9, 6, v4
	s_mov_b64 s[88:89], exec
.LBB4_880:                              ;   in Loop: Header=BB4_755 Depth=3
	s_or_b64 exec, exec, s[40:41]
	s_and_b64 s[40:41], s[88:89], exec
.LBB4_881:                              ;   in Loop: Header=BB4_755 Depth=3
	s_or_b64 exec, exec, s[28:29]
	s_and_saveexec_b64 s[26:27], s[40:41]
	s_cbranch_execz .LBB4_890
.LBB4_882:                              ;   in Loop: Header=BB4_755 Depth=3
	v_ashrrev_i32_e32 v4, 31, v53
	v_lshrrev_b32_e32 v4, 22, v4
	v_add_u32_e32 v4, v53, v4
	v_ashrrev_i32_e32 v35, 10, v4
	v_sub_u32_e32 v34, v35, v9
	v_cmp_lt_i32_e32 vcc, 0, v34
	s_and_saveexec_b64 s[28:29], vcc
	s_cbranch_execz .LBB4_886
; %bb.883:                              ;   in Loop: Header=BB4_755 Depth=3
	v_ashrrev_i32_e32 v4, 31, v38
	v_lshrrev_b32_e32 v4, 26, v4
	v_add_u32_e32 v4, v38, v4
	v_and_b32_e32 v4, 0x3fffffc0, v4
	v_sub_u32_e32 v4, v38, v4
	v_lshlrev_b32_e32 v4, 2, v4
	v_lshlrev_b32_e32 v5, 10, v9
	v_add3_u32 v39, v4, v0, v5
	v_mov_b32_e32 v8, v42
	v_mov_b32_e32 v10, v40
	v_ashrrev_i32_e32 v48, 31, v39
	s_mov_b64 s[40:41], 0
	v_mov_b32_e32 v9, v43
	v_mov_b32_e32 v11, v41
.LBB4_884:                              ;   Parent Loop BB4_47 Depth=1
                                        ;     Parent Loop BB4_752 Depth=2
                                        ;       Parent Loop BB4_755 Depth=3
                                        ; =>      This Inner Loop Header: Depth=4
	v_add_co_u32_e32 v4, vcc, v39, v10
	v_addc_co_u32_e32 v5, vcc, v48, v11, vcc
	s_waitcnt vmcnt(0)
	flat_load_dword v6, v[4:5] glc slc
	flat_load_dword v7, v[4:5] offset:256 glc slc
	flat_load_dword v16, v[4:5] offset:512 glc slc
	;; [unrolled: 1-line block ×3, first 2 shown]
	v_add_co_u32_e32 v4, vcc, v39, v8
	v_addc_co_u32_e32 v5, vcc, v48, v9, vcc
	v_add_co_u32_e32 v10, vcc, v10, v14
	v_addc_co_u32_e32 v11, vcc, 0, v11, vcc
	v_add_co_u32_e32 v8, vcc, v8, v14
	v_sub_u32_e32 v34, v34, v61
	v_addc_co_u32_e32 v9, vcc, 0, v9, vcc
	v_cmp_gt_i32_e32 vcc, 1, v34
	s_or_b64 s[40:41], vcc, s[40:41]
	s_waitcnt vmcnt(0) lgkmcnt(0)
	flat_store_dword v[4:5], v6 glc slc
	flat_store_dword v[4:5], v7 offset:256 glc slc
	flat_store_dword v[4:5], v16 offset:512 glc slc
	;; [unrolled: 1-line block ×3, first 2 shown]
	s_andn2_b64 exec, exec, s[40:41]
	s_cbranch_execnz .LBB4_884
; %bb.885:                              ;   in Loop: Header=BB4_755 Depth=3
	s_or_b64 exec, exec, s[40:41]
.LBB4_886:                              ;   in Loop: Header=BB4_755 Depth=3
	s_or_b64 exec, exec, s[28:29]
	v_lshlrev_b32_e32 v8, 10, v35
	v_cmp_ne_u32_e32 vcc, v53, v8
	s_and_b64 exec, exec, vcc
	s_cbranch_execz .LBB4_890
; %bb.887:                              ;   in Loop: Header=BB4_755 Depth=3
	v_ashrrev_i32_e32 v4, 31, v38
	v_lshrrev_b32_e32 v4, 26, v4
	v_add_u32_e32 v4, v38, v4
	v_and_b32_e32 v4, 0xffffffc0, v4
	v_sub_u32_e32 v4, v38, v4
	v_lshlrev_b32_e32 v5, 6, v34
	v_sub_u32_e32 v4, v4, v5
	v_ashrrev_i32_e32 v5, 31, v4
	v_lshrrev_b32_e32 v5, 26, v5
	v_add_u32_e32 v5, v4, v5
	s_waitcnt vmcnt(0)
	v_and_b32_e32 v6, 0x3fffffc0, v5
	v_sub_u32_e32 v4, v4, v6
	v_lshlrev_b32_e32 v5, 2, v5
	v_and_b32_e32 v5, 0xffffff00, v5
	v_lshlrev_b32_e32 v4, 2, v4
	v_add3_u32 v9, v5, v4, v8
	v_sub_u32_e32 v8, v53, v9
	v_cmp_lt_i32_e32 vcc, 3, v8
	s_and_b64 exec, exec, vcc
	s_cbranch_execz .LBB4_890
; %bb.888:                              ;   in Loop: Header=BB4_755 Depth=3
	v_add_u32_e32 v0, v9, v0
	v_ashrrev_i32_e32 v9, 31, v0
	s_mov_b64 s[28:29], 0
.LBB4_889:                              ;   Parent Loop BB4_47 Depth=1
                                        ;     Parent Loop BB4_752 Depth=2
                                        ;       Parent Loop BB4_755 Depth=3
                                        ; =>      This Inner Loop Header: Depth=4
	v_add_co_u32_e32 v4, vcc, v40, v0
	v_addc_co_u32_e32 v5, vcc, v41, v9, vcc
	flat_load_dword v6, v[4:5] glc slc
	v_add_co_u32_e32 v4, vcc, v42, v0
	v_addc_co_u32_e32 v5, vcc, v43, v9, vcc
	v_add_co_u32_e32 v0, vcc, v0, v15
	v_sub_u32_e32 v8, v8, v15
	v_addc_co_u32_e32 v9, vcc, 0, v9, vcc
	v_cmp_gt_i32_e32 vcc, 4, v8
	s_or_b64 s[28:29], vcc, s[28:29]
	s_waitcnt vmcnt(0) lgkmcnt(0)
	flat_store_dword v[4:5], v6 glc slc
	s_andn2_b64 exec, exec, s[28:29]
	s_cbranch_execnz .LBB4_889
.LBB4_890:                              ;   in Loop: Header=BB4_755 Depth=3
	s_or_b64 exec, exec, s[26:27]
.LBB4_891:                              ;   in Loop: Header=BB4_755 Depth=3
	v_cmp_lt_i32_e64 s[26:27], 0, v51
.LBB4_892:                              ;   in Loop: Header=BB4_755 Depth=3
	buffer_load_dword v42, off, s[0:3], s33 offset:60 ; 4-byte Folded Reload
	buffer_load_dword v43, off, s[0:3], s33 offset:64 ; 4-byte Folded Reload
	;; [unrolled: 1-line block ×4, first 2 shown]
	s_and_saveexec_b64 s[28:29], s[10:11]
	s_cbranch_execz .LBB4_831
.LBB4_893:                              ;   in Loop: Header=BB4_755 Depth=3
	s_and_saveexec_b64 s[40:41], s[56:57]
	s_xor_b64 s[40:41], exec, s[40:41]
	s_cbranch_execz .LBB4_908
; %bb.894:                              ;   in Loop: Header=BB4_755 Depth=3
	s_and_saveexec_b64 s[88:89], s[16:17]
	s_cbranch_execz .LBB4_907
; %bb.895:                              ;   in Loop: Header=BB4_755 Depth=3
	s_mov_b64 s[92:93], exec
	v_mbcnt_lo_u32_b32 v0, s92, 0
	v_mbcnt_hi_u32_b32 v0, s93, v0
	v_cmp_eq_u32_e32 vcc, 0, v0
	s_waitcnt vmcnt(0) lgkmcnt(0)
	buffer_wbinvl1_vol
	s_and_saveexec_b64 s[90:91], vcc
	s_cbranch_execz .LBB4_897
; %bb.896:                              ;   in Loop: Header=BB4_755 Depth=3
	s_bcnt1_i32_b64 s92, s[92:93]
	v_mov_b32_e32 v4, s92
	v_mov_b32_e32 v5, v2
	ds_add_u64 v0, v[4:5]
	s_trap 2
.LBB4_897:                              ;   in Loop: Header=BB4_755 Depth=3
	s_or_b64 exec, exec, s[90:91]
	s_trap 2
	ds_read_b64 v[4:5], v0
	s_waitcnt lgkmcnt(0)
	v_add_co_u32_e32 v12, vcc, v12, v61
	v_addc_co_u32_e32 v13, vcc, 0, v13, vcc
	v_cmp_lt_u64_e32 vcc, v[4:5], v[12:13]
	s_and_saveexec_b64 s[90:91], vcc
	s_cbranch_execz .LBB4_906
; %bb.898:                              ;   in Loop: Header=BB4_755 Depth=3
	s_mov_b32 s38, 0
	s_mov_b64 s[92:93], 0
                                        ; implicit-def: $sgpr94_sgpr95
                                        ; implicit-def: $sgpr30_sgpr31
	s_branch .LBB4_900
.LBB4_899:                              ;   in Loop: Header=BB4_900 Depth=4
	s_or_b64 exec, exec, s[36:37]
	s_and_b64 vcc, exec, vcc
	s_or_b64 s[92:93], vcc, s[92:93]
	s_andn2_b64 s[94:95], s[94:95], exec
	s_and_b64 vcc, s[30:31], exec
	s_or_b64 s[94:95], s[94:95], vcc
	s_andn2_b64 exec, exec, s[92:93]
	s_cbranch_execz .LBB4_904
.LBB4_900:                              ;   Parent Loop BB4_47 Depth=1
                                        ;     Parent Loop BB4_752 Depth=2
                                        ;       Parent Loop BB4_755 Depth=3
                                        ; =>      This Inner Loop Header: Depth=4
	s_add_i32 s38, s38, 1
	s_cmpk_lg_i32 s38, 0x2710
	s_cselect_b64 s[34:35], -1, 0
	s_and_b64 vcc, exec, s[34:35]
	s_cbranch_vccz .LBB4_902
; %bb.901:                              ;   in Loop: Header=BB4_900 Depth=4
	s_mov_b64 vcc, -1
	s_or_b64 s[30:31], s[30:31], exec
	s_and_saveexec_b64 s[36:37], s[34:35]
	s_cbranch_execz .LBB4_899
	s_branch .LBB4_903
.LBB4_902:                              ;   in Loop: Header=BB4_900 Depth=4
	s_trap 2
	ds_read_b64 v[4:5], v0
	s_andn2_b64 s[34:35], s[34:35], exec
	s_mov_b32 s38, 0
	s_waitcnt lgkmcnt(0)
	flat_load_dword v0, v[4:5] glc
	s_waitcnt vmcnt(0) lgkmcnt(0)
	buffer_wbinvl1_vol
	v_cmp_eq_u32_e32 vcc, 0, v0
	s_and_b64 vcc, vcc, exec
	s_or_b64 s[34:35], s[34:35], vcc
	s_mov_b64 vcc, -1
	s_or_b64 s[30:31], s[30:31], exec
	s_and_saveexec_b64 s[36:37], s[34:35]
	s_cbranch_execz .LBB4_899
.LBB4_903:                              ;   in Loop: Header=BB4_900 Depth=4
	s_sleep 1
	s_trap 2
	ds_read_b64 v[4:5], v0
	s_waitcnt lgkmcnt(0)
	s_andn2_b64 s[30:31], s[30:31], exec
	v_cmp_ge_u64_e32 vcc, v[4:5], v[12:13]
	s_orn2_b64 vcc, vcc, exec
	s_branch .LBB4_899
.LBB4_904:                              ;   in Loop: Header=BB4_755 Depth=3
	s_or_b64 exec, exec, s[92:93]
	s_and_saveexec_b64 s[92:93], s[94:95]
	s_xor_b64 s[92:93], exec, s[92:93]
	s_cbranch_execz .LBB4_906
; %bb.905:                              ;   in Loop: Header=BB4_755 Depth=3
	ds_write_b32 v0, v24
	s_trap 2
.LBB4_906:                              ;   in Loop: Header=BB4_755 Depth=3
	s_or_b64 exec, exec, s[90:91]
	;;#ASMSTART
	s_wakeup
	;;#ASMEND
.LBB4_907:                              ;   in Loop: Header=BB4_755 Depth=3
	s_or_b64 exec, exec, s[88:89]
.LBB4_908:                              ;   in Loop: Header=BB4_755 Depth=3
	s_andn2_saveexec_b64 s[40:41], s[40:41]
	s_cbranch_execz .LBB4_910
; %bb.909:                              ;   in Loop: Header=BB4_755 Depth=3
	s_waitcnt vmcnt(0) lgkmcnt(0)
	buffer_wbinvl1_vol
	s_barrier
.LBB4_910:                              ;   in Loop: Header=BB4_755 Depth=3
	s_or_b64 exec, exec, s[40:41]
	s_or_b64 exec, exec, s[28:29]
                                        ; implicit-def: $vgpr0
	s_and_saveexec_b64 s[28:29], s[24:25]
	s_xor_b64 s[28:29], exec, s[28:29]
	s_cbranch_execnz .LBB4_832
.LBB4_911:                              ;   in Loop: Header=BB4_755 Depth=3
	s_andn2_saveexec_b64 s[26:27], s[28:29]
	s_cbranch_execz .LBB4_930
.LBB4_912:                              ;   in Loop: Header=BB4_755 Depth=3
	s_and_saveexec_b64 s[28:29], s[56:57]
	s_xor_b64 s[28:29], exec, s[28:29]
	s_cbranch_execz .LBB4_927
; %bb.913:                              ;   in Loop: Header=BB4_755 Depth=3
	s_and_saveexec_b64 s[40:41], s[16:17]
	s_cbranch_execz .LBB4_926
; %bb.914:                              ;   in Loop: Header=BB4_755 Depth=3
	s_mov_b64 s[90:91], exec
	v_mbcnt_lo_u32_b32 v0, s90, 0
	v_mbcnt_hi_u32_b32 v0, s91, v0
	v_cmp_eq_u32_e32 vcc, 0, v0
	;;#ASMSTART
	s_waitcnt lgkmcnt(0) vmcnt(0)
	;;#ASMEND
	s_and_saveexec_b64 s[88:89], vcc
	s_cbranch_execz .LBB4_916
; %bb.915:                              ;   in Loop: Header=BB4_755 Depth=3
	s_bcnt1_i32_b64 s90, s[90:91]
	v_mov_b32_e32 v4, s90
	v_mov_b32_e32 v5, v2
	s_waitcnt lgkmcnt(0)
	ds_add_u64 v0, v[4:5]
	s_trap 2
.LBB4_916:                              ;   in Loop: Header=BB4_755 Depth=3
	s_or_b64 exec, exec, s[88:89]
	s_trap 2
	ds_read_b64 v[4:5], v0
	s_waitcnt lgkmcnt(0)
	v_add_co_u32_e32 v12, vcc, v12, v61
	v_addc_co_u32_e32 v13, vcc, 0, v13, vcc
	v_cmp_lt_u64_e32 vcc, v[4:5], v[12:13]
	s_and_saveexec_b64 s[88:89], vcc
	s_cbranch_execz .LBB4_925
; %bb.917:                              ;   in Loop: Header=BB4_755 Depth=3
	s_mov_b32 s36, 0
	s_mov_b64 s[90:91], 0
                                        ; implicit-def: $sgpr92_sgpr93
                                        ; implicit-def: $sgpr94_sgpr95
	s_branch .LBB4_919
.LBB4_918:                              ;   in Loop: Header=BB4_919 Depth=4
	s_or_b64 exec, exec, s[34:35]
	s_and_b64 vcc, exec, vcc
	s_or_b64 s[90:91], vcc, s[90:91]
	s_andn2_b64 s[92:93], s[92:93], exec
	s_and_b64 vcc, s[94:95], exec
	s_or_b64 s[92:93], s[92:93], vcc
	s_andn2_b64 exec, exec, s[90:91]
	s_cbranch_execz .LBB4_923
.LBB4_919:                              ;   Parent Loop BB4_47 Depth=1
                                        ;     Parent Loop BB4_752 Depth=2
                                        ;       Parent Loop BB4_755 Depth=3
                                        ; =>      This Inner Loop Header: Depth=4
	s_add_i32 s36, s36, 1
	s_cmpk_lg_i32 s36, 0x2710
	s_cselect_b64 s[30:31], -1, 0
	s_and_b64 vcc, exec, s[30:31]
	s_cbranch_vccz .LBB4_921
; %bb.920:                              ;   in Loop: Header=BB4_919 Depth=4
	s_mov_b64 vcc, -1
	s_or_b64 s[94:95], s[94:95], exec
	s_and_saveexec_b64 s[34:35], s[30:31]
	s_cbranch_execz .LBB4_918
	s_branch .LBB4_922
.LBB4_921:                              ;   in Loop: Header=BB4_919 Depth=4
	s_trap 2
	ds_read_b64 v[4:5], v0
	s_andn2_b64 s[30:31], s[30:31], exec
	s_mov_b32 s36, 0
	s_waitcnt vmcnt(0) lgkmcnt(0)
	flat_load_dword v0, v[4:5] glc
	s_waitcnt vmcnt(0) lgkmcnt(0)
	buffer_wbinvl1_vol
	v_cmp_eq_u32_e32 vcc, 0, v0
	s_and_b64 vcc, vcc, exec
	s_or_b64 s[30:31], s[30:31], vcc
	s_mov_b64 vcc, -1
	s_or_b64 s[94:95], s[94:95], exec
	s_and_saveexec_b64 s[34:35], s[30:31]
	s_cbranch_execz .LBB4_918
.LBB4_922:                              ;   in Loop: Header=BB4_919 Depth=4
	s_sleep 1
	s_trap 2
	ds_read_b64 v[4:5], v0
	s_waitcnt lgkmcnt(0)
	s_andn2_b64 s[94:95], s[94:95], exec
	v_cmp_ge_u64_e32 vcc, v[4:5], v[12:13]
	s_orn2_b64 vcc, vcc, exec
	s_branch .LBB4_918
.LBB4_923:                              ;   in Loop: Header=BB4_755 Depth=3
	s_or_b64 exec, exec, s[90:91]
	s_and_saveexec_b64 s[90:91], s[92:93]
	s_xor_b64 s[90:91], exec, s[90:91]
	s_cbranch_execz .LBB4_925
; %bb.924:                              ;   in Loop: Header=BB4_755 Depth=3
	ds_write_b32 v0, v24
	s_trap 2
.LBB4_925:                              ;   in Loop: Header=BB4_755 Depth=3
	s_or_b64 exec, exec, s[88:89]
	;;#ASMSTART
	s_wakeup
	;;#ASMEND
.LBB4_926:                              ;   in Loop: Header=BB4_755 Depth=3
	s_or_b64 exec, exec, s[40:41]
.LBB4_927:                              ;   in Loop: Header=BB4_755 Depth=3
	s_andn2_saveexec_b64 s[28:29], s[28:29]
	s_cbranch_execz .LBB4_929
; %bb.928:                              ;   in Loop: Header=BB4_755 Depth=3
	;;#ASMSTART
	s_waitcnt lgkmcnt(0) vmcnt(0)
	;;#ASMEND
	s_waitcnt vmcnt(0) lgkmcnt(0)
	s_barrier
.LBB4_929:                              ;   in Loop: Header=BB4_755 Depth=3
	s_or_b64 exec, exec, s[28:29]
	v_and_b32_e32 v0, 16, v59
.LBB4_930:                              ;   in Loop: Header=BB4_755 Depth=3
	s_or_b64 exec, exec, s[26:27]
	v_cmp_ne_u32_e32 vcc, 0, v0
	s_xor_b64 s[26:27], s[12:13], -1
	s_and_b64 s[28:29], vcc, s[26:27]
	s_and_saveexec_b64 s[26:27], s[28:29]
	s_cbranch_execz .LBB4_932
; %bb.931:                              ;   in Loop: Header=BB4_755 Depth=3
	s_waitcnt vmcnt(0)
	flat_store_dword v[56:57], v24
.LBB4_932:                              ;   in Loop: Header=BB4_755 Depth=3
	s_or_b64 exec, exec, s[26:27]
	v_and_b32_e32 v0, 48, v59
	v_cmp_ne_u32_e32 vcc, 0, v0
	s_and_saveexec_b64 s[26:27], vcc
	s_cbranch_execz .LBB4_754
; %bb.933:                              ;   in Loop: Header=BB4_755 Depth=3
	v_add_co_u32_e32 v36, vcc, 2, v36
	v_addc_co_u32_e32 v37, vcc, 0, v37, vcc
	flat_store_dwordx2 v[20:21], v[36:37]
	s_branch .LBB4_754
.LBB4_934:                              ;   in Loop: Header=BB4_752 Depth=2
	s_or_b64 exec, exec, s[76:77]
.LBB4_935:                              ;   in Loop: Header=BB4_752 Depth=2
	s_or_b64 exec, exec, s[42:43]
	v_cmp_gt_i32_e32 vcc, 2, v0
	s_and_saveexec_b64 s[28:29], vcc
	s_cbranch_execz .LBB4_1011
; %bb.936:                              ;   in Loop: Header=BB4_752 Depth=2
	v_cmp_eq_u32_e64 s[42:43], 0, v0
	s_mov_b64 s[40:41], 0
	s_branch .LBB4_938
.LBB4_937:                              ;   in Loop: Header=BB4_938 Depth=3
	s_or_b64 exec, exec, s[26:27]
	v_add_u32_e32 v52, v50, v52
	s_mov_b64 s[42:43], 0
	s_andn2_b64 exec, exec, s[40:41]
	s_cbranch_execz .LBB4_1010
.LBB4_938:                              ;   Parent Loop BB4_47 Depth=1
                                        ;     Parent Loop BB4_752 Depth=2
                                        ; =>    This Loop Header: Depth=3
                                        ;         Child Loop BB4_944 Depth 4
                                        ;         Child Loop BB4_972 Depth 4
	;; [unrolled: 1-line block ×3, first 2 shown]
	v_sub_u32_e32 v0, v3, v52
	v_min_i32_e32 v50, v50, v0
	v_and_b32_e32 v0, 12, v59
	v_cmp_ne_u32_e32 vcc, 0, v0
	s_and_saveexec_b64 s[76:77], vcc
	s_cbranch_execz .LBB4_964
; %bb.939:                              ;   in Loop: Header=BB4_938 Depth=3
	v_and_b32_e32 v38, 8, v59
	s_waitcnt vmcnt(0) lgkmcnt(0)
	v_add_co_u32_e32 v4, vcc, v26, v38
	v_addc_co_u32_e32 v5, vcc, 0, v27, vcc
	v_add_co_u32_e32 v8, vcc, 2, v36
	v_addc_co_u32_e32 v9, vcc, 0, v37, vcc
	v_cmp_lt_u64_e32 vcc, v[4:5], v[8:9]
	s_and_saveexec_b64 s[78:79], vcc
	s_cbranch_execz .LBB4_951
; %bb.940:                              ;   in Loop: Header=BB4_938 Depth=3
	v_and_b32_e32 v0, 64, v59
	s_mov_b32 s50, 0
	v_cmp_eq_u32_e32 vcc, 0, v0
	s_mov_b64 s[88:89], 0
                                        ; implicit-def: $sgpr90_sgpr91
                                        ; implicit-def: $sgpr92_sgpr93
                                        ; implicit-def: $sgpr94_sgpr95
	s_branch .LBB4_944
.LBB4_941:                              ;   in Loop: Header=BB4_944 Depth=4
	s_waitcnt vmcnt(0) lgkmcnt(0)
	v_add_co_u32_e64 v4, s[26:27], v26, v38
	v_addc_co_u32_e64 v5, s[26:27], 0, v27, s[26:27]
	v_cmp_ge_u64_e64 s[26:27], v[4:5], v[8:9]
	s_or_b64 s[36:37], s[36:37], exec
	s_orn2_b64 s[34:35], s[26:27], exec
.LBB4_942:                              ;   in Loop: Header=BB4_944 Depth=4
	s_or_b64 exec, exec, s[48:49]
	s_andn2_b64 s[26:27], s[94:95], exec
	s_and_b64 s[94:95], s[36:37], exec
	s_or_b64 s[94:95], s[26:27], s[94:95]
	s_andn2_b64 s[26:27], s[92:93], exec
	s_and_b64 s[92:93], s[34:35], exec
	s_or_b64 s[92:93], s[26:27], s[92:93]
.LBB4_943:                              ;   in Loop: Header=BB4_944 Depth=4
	s_or_b64 exec, exec, s[30:31]
	s_and_b64 s[26:27], exec, s[92:93]
	s_or_b64 s[88:89], s[26:27], s[88:89]
	s_andn2_b64 s[26:27], s[90:91], exec
	s_and_b64 s[90:91], s[94:95], exec
	s_or_b64 s[90:91], s[26:27], s[90:91]
	s_andn2_b64 exec, exec, s[88:89]
	s_cbranch_execz .LBB4_948
.LBB4_944:                              ;   Parent Loop BB4_47 Depth=1
                                        ;     Parent Loop BB4_752 Depth=2
                                        ;       Parent Loop BB4_938 Depth=3
                                        ; =>      This Inner Loop Header: Depth=4
	s_sleep 1
	s_waitcnt vmcnt(0) lgkmcnt(0)
	flat_load_dwordx2 v[26:27], v[20:21] glc
	s_or_b64 s[94:95], s[94:95], exec
	s_or_b64 s[92:93], s[92:93], exec
                                        ; implicit-def: $vgpr0
	s_and_saveexec_b64 s[30:31], vcc
	s_cbranch_execz .LBB4_943
; %bb.945:                              ;   in Loop: Header=BB4_944 Depth=4
	s_cmpk_lt_i32 s50, 0x270f
	s_cselect_b64 s[38:39], -1, 0
	s_cmpk_gt_i32 s50, 0x270e
	s_mov_b64 s[34:35], -1
	s_cbranch_scc0 .LBB4_947
; %bb.946:                              ;   in Loop: Header=BB4_944 Depth=4
	s_trap 2
	ds_read_b64 v[4:5], v0
	s_andn2_b64 s[38:39], s[38:39], exec
	s_mov_b32 s50, 0
	s_mov_b64 s[36:37], 0
	s_waitcnt vmcnt(0) lgkmcnt(0)
	flat_load_dword v0, v[4:5] glc
	s_waitcnt vmcnt(0) lgkmcnt(0)
	buffer_wbinvl1_vol
	v_cmp_eq_u32_e64 s[26:27], 0, v0
	s_and_b64 s[26:27], s[26:27], exec
	s_or_b64 s[38:39], s[38:39], s[26:27]
	s_and_saveexec_b64 s[48:49], s[38:39]
	s_cbranch_execz .LBB4_942
	s_branch .LBB4_941
.LBB4_947:                              ;   in Loop: Header=BB4_944 Depth=4
	s_add_i32 s50, s50, 1
	s_mov_b64 s[36:37], -1
                                        ; implicit-def: $vgpr0
	s_and_saveexec_b64 s[48:49], s[38:39]
	s_cbranch_execz .LBB4_942
	s_branch .LBB4_941
.LBB4_948:                              ;   in Loop: Header=BB4_938 Depth=3
	s_or_b64 exec, exec, s[88:89]
	s_xor_b64 s[26:27], s[90:91], -1
	s_and_saveexec_b64 s[88:89], s[26:27]
	s_xor_b64 s[26:27], exec, s[88:89]
	s_cbranch_execz .LBB4_950
; %bb.949:                              ;   in Loop: Header=BB4_938 Depth=3
	v_or_b32_e32 v59, 64, v59
	s_waitcnt lgkmcnt(0)
	ds_write_b32 v0, v0
	s_trap 2
.LBB4_950:                              ;   in Loop: Header=BB4_938 Depth=3
	s_or_b64 exec, exec, s[26:27]
.LBB4_951:                              ;   in Loop: Header=BB4_938 Depth=3
	s_or_b64 exec, exec, s[78:79]
	v_and_b32_e32 v0, 0x108, v59
	v_cmp_ne_u32_e32 vcc, s54, v0
	;;#ASMSTART
	s_wakeup
	;;#ASMEND
                                        ; implicit-def: $vgpr10_vgpr11
	s_and_saveexec_b64 s[26:27], vcc
	s_xor_b64 s[26:27], exec, s[26:27]
; %bb.952:                              ;   in Loop: Header=BB4_938 Depth=3
	v_and_b32_e32 v10, 7, v36
	v_mov_b32_e32 v11, v2
                                        ; implicit-def: $vgpr36_vgpr37
; %bb.953:                              ;   in Loop: Header=BB4_938 Depth=3
	s_andn2_saveexec_b64 s[26:27], s[26:27]
	s_cbranch_execz .LBB4_955
; %bb.954:                              ;   in Loop: Header=BB4_938 Depth=3
	v_and_b32_e32 v10, 7, v36
	v_mad_u64_u32 v[4:5], s[78:79], v10, 24, v[42:43]
	v_ashrrev_i32_e32 v51, 31, v50
	v_lshlrev_b64 v[6:7], 2, v[50:51]
	v_mov_b32_e32 v11, v2
	flat_store_dwordx2 v[4:5], v[6:7] offset:8
.LBB4_955:                              ;   in Loop: Header=BB4_938 Depth=3
	s_or_b64 exec, exec, s[26:27]
	v_and_b32_e32 v0, 0x100, v59
	v_cmp_ne_u32_e32 vcc, 0, v0
	s_mov_b64 s[26:27], -1
                                        ; implicit-def: $vgpr36_vgpr37
	s_and_saveexec_b64 s[78:79], vcc
	s_cbranch_execz .LBB4_959
; %bb.956:                              ;   in Loop: Header=BB4_938 Depth=3
	v_mad_u64_u32 v[53:54], s[26:27], v10, 24, v[42:43]
                                        ; implicit-def: $vgpr36_vgpr37
	v_mov_b32_e32 v0, v54
	v_mad_u64_u32 v[4:5], s[26:27], v11, 24, v[0:1]
	v_mov_b32_e32 v54, v4
	flat_load_dword v0, v[53:54]
	s_waitcnt vmcnt(0) lgkmcnt(0)
	v_cmp_ne_u32_e32 vcc, 1, v0
	v_cmp_eq_u32_e64 s[26:27], 1, v0
	s_and_saveexec_b64 s[88:89], s[26:27]
	s_cbranch_execz .LBB4_958
; %bb.957:                              ;   in Loop: Header=BB4_938 Depth=3
	flat_load_dword v4, v[53:54] offset:4 glc
	s_waitcnt vmcnt(0) lgkmcnt(0)
	v_ashrrev_i32_e32 v5, 31, v4
	v_lshrrev_b64 v[36:37], 2, v[4:5]
.LBB4_958:                              ;   in Loop: Header=BB4_938 Depth=3
	s_or_b64 exec, exec, s[88:89]
	s_orn2_b64 s[26:27], vcc, exec
.LBB4_959:                              ;   in Loop: Header=BB4_938 Depth=3
	s_or_b64 exec, exec, s[78:79]
	s_and_saveexec_b64 s[78:79], s[26:27]
	s_cbranch_execz .LBB4_961
; %bb.960:                              ;   in Loop: Header=BB4_938 Depth=3
	v_mul_lo_u32 v0, v11, v60
	v_mul_lo_u32 v4, v10, v33
	v_mad_u64_u32 v[36:37], s[26:27], v10, v60, 0
	v_add3_u32 v37, v37, v4, v0
.LBB4_961:                              ;   in Loop: Header=BB4_938 Depth=3
	s_or_b64 exec, exec, s[78:79]
	v_lshlrev_b64 v[4:5], 2, v[36:37]
	v_cmp_eq_u32_e32 vcc, 0, v38
	v_cndmask_b32_e32 v0, v22, v23, vcc
	v_add_co_u32_e32 v4, vcc, v29, v4
	v_addc_co_u32_e32 v5, vcc, v30, v5, vcc
	v_add_u32_e32 v0, v0, v0
	ds_write_b64 v0, v[4:5] offset:584
	v_and_b32_e32 v0, 0x2000, v59
	v_cmp_ne_u32_e32 vcc, 0, v0
	s_and_saveexec_b64 s[26:27], vcc
	s_cbranch_execz .LBB4_963
; %bb.962:                              ;   in Loop: Header=BB4_938 Depth=3
	ds_read_b64 v[4:5], v0 offset:872
	s_waitcnt lgkmcnt(0)
	v_add_co_u32_e32 v4, vcc, 1, v4
	v_addc_co_u32_e32 v5, vcc, 0, v5, vcc
	ds_write_b64 v0, v[4:5] offset:872
.LBB4_963:                              ;   in Loop: Header=BB4_938 Depth=3
	s_or_b64 exec, exec, s[26:27]
	v_mov_b32_e32 v37, v9
	v_mov_b32_e32 v36, v8
.LBB4_964:                              ;   in Loop: Header=BB4_938 Depth=3
	s_or_b64 exec, exec, s[76:77]
	s_xor_b64 s[26:27], s[42:43], -1
	s_and_b64 s[26:27], exec, s[26:27]
	s_or_b64 s[40:41], s[26:27], s[40:41]
	s_and_saveexec_b64 s[26:27], s[10:11]
	s_cbranch_execz .LBB4_983
; %bb.965:                              ;   in Loop: Header=BB4_938 Depth=3
	s_and_saveexec_b64 s[42:43], s[56:57]
	s_xor_b64 s[42:43], exec, s[42:43]
	s_cbranch_execz .LBB4_980
; %bb.966:                              ;   in Loop: Header=BB4_938 Depth=3
	s_and_saveexec_b64 s[76:77], s[16:17]
	s_cbranch_execz .LBB4_979
; %bb.967:                              ;   in Loop: Header=BB4_938 Depth=3
	s_mov_b64 s[88:89], exec
	v_mbcnt_lo_u32_b32 v0, s88, 0
	v_mbcnt_hi_u32_b32 v0, s89, v0
	v_cmp_eq_u32_e32 vcc, 0, v0
	s_waitcnt vmcnt(0) lgkmcnt(0)
	buffer_wbinvl1_vol
	s_and_saveexec_b64 s[78:79], vcc
	s_cbranch_execz .LBB4_969
; %bb.968:                              ;   in Loop: Header=BB4_938 Depth=3
	s_bcnt1_i32_b64 s88, s[88:89]
	v_mov_b32_e32 v4, s88
	v_mov_b32_e32 v5, v2
	ds_add_u64 v0, v[4:5]
	s_trap 2
.LBB4_969:                              ;   in Loop: Header=BB4_938 Depth=3
	s_or_b64 exec, exec, s[78:79]
	s_trap 2
	ds_read_b64 v[4:5], v0
	s_waitcnt lgkmcnt(0)
	v_add_co_u32_e32 v12, vcc, v12, v61
	v_addc_co_u32_e32 v13, vcc, 0, v13, vcc
	v_cmp_lt_u64_e32 vcc, v[4:5], v[12:13]
	s_and_saveexec_b64 s[78:79], vcc
	s_cbranch_execz .LBB4_978
; %bb.970:                              ;   in Loop: Header=BB4_938 Depth=3
	s_mov_b32 s34, 0
	s_mov_b64 s[88:89], 0
                                        ; implicit-def: $sgpr90_sgpr91
                                        ; implicit-def: $sgpr92_sgpr93
	s_branch .LBB4_972
.LBB4_971:                              ;   in Loop: Header=BB4_972 Depth=4
	s_or_b64 exec, exec, s[30:31]
	s_and_b64 s[94:95], exec, vcc
	s_or_b64 s[88:89], s[94:95], s[88:89]
	s_andn2_b64 s[90:91], s[90:91], exec
	s_and_b64 s[94:95], s[92:93], exec
	s_or_b64 s[90:91], s[90:91], s[94:95]
	s_andn2_b64 exec, exec, s[88:89]
	s_cbranch_execz .LBB4_976
.LBB4_972:                              ;   Parent Loop BB4_47 Depth=1
                                        ;     Parent Loop BB4_752 Depth=2
                                        ;       Parent Loop BB4_938 Depth=3
                                        ; =>      This Inner Loop Header: Depth=4
	s_add_i32 s34, s34, 1
	s_cmpk_lg_i32 s34, 0x2710
	s_cselect_b64 s[94:95], -1, 0
	s_and_b64 vcc, exec, s[94:95]
	s_cbranch_vccz .LBB4_974
; %bb.973:                              ;   in Loop: Header=BB4_972 Depth=4
	s_mov_b64 vcc, -1
	s_or_b64 s[92:93], s[92:93], exec
	s_and_saveexec_b64 s[30:31], s[94:95]
	s_cbranch_execz .LBB4_971
	s_branch .LBB4_975
.LBB4_974:                              ;   in Loop: Header=BB4_972 Depth=4
	s_trap 2
	ds_read_b64 v[4:5], v0
	s_andn2_b64 s[94:95], s[94:95], exec
	s_mov_b32 s34, 0
	s_waitcnt lgkmcnt(0)
	flat_load_dword v0, v[4:5] glc
	s_waitcnt vmcnt(0) lgkmcnt(0)
	buffer_wbinvl1_vol
	v_cmp_eq_u32_e32 vcc, 0, v0
	s_and_b64 vcc, vcc, exec
	s_or_b64 s[94:95], s[94:95], vcc
	s_mov_b64 vcc, -1
	s_or_b64 s[92:93], s[92:93], exec
	s_and_saveexec_b64 s[30:31], s[94:95]
	s_cbranch_execz .LBB4_971
.LBB4_975:                              ;   in Loop: Header=BB4_972 Depth=4
	s_sleep 1
	s_trap 2
	ds_read_b64 v[4:5], v0
	s_waitcnt lgkmcnt(0)
	s_andn2_b64 s[92:93], s[92:93], exec
	v_cmp_ge_u64_e32 vcc, v[4:5], v[12:13]
	s_orn2_b64 vcc, vcc, exec
	s_branch .LBB4_971
.LBB4_976:                              ;   in Loop: Header=BB4_938 Depth=3
	s_or_b64 exec, exec, s[88:89]
	s_and_saveexec_b64 s[88:89], s[90:91]
	s_xor_b64 s[88:89], exec, s[88:89]
	s_cbranch_execz .LBB4_978
; %bb.977:                              ;   in Loop: Header=BB4_938 Depth=3
	ds_write_b32 v0, v24
	s_trap 2
.LBB4_978:                              ;   in Loop: Header=BB4_938 Depth=3
	s_or_b64 exec, exec, s[78:79]
	;;#ASMSTART
	s_wakeup
	;;#ASMEND
.LBB4_979:                              ;   in Loop: Header=BB4_938 Depth=3
	s_or_b64 exec, exec, s[76:77]
.LBB4_980:                              ;   in Loop: Header=BB4_938 Depth=3
	s_andn2_saveexec_b64 s[42:43], s[42:43]
	s_cbranch_execz .LBB4_982
; %bb.981:                              ;   in Loop: Header=BB4_938 Depth=3
	s_waitcnt vmcnt(0) lgkmcnt(0)
	buffer_wbinvl1_vol
	s_barrier
.LBB4_982:                              ;   in Loop: Header=BB4_938 Depth=3
	s_or_b64 exec, exec, s[42:43]
.LBB4_983:                              ;   in Loop: Header=BB4_938 Depth=3
	s_or_b64 exec, exec, s[26:27]
                                        ; implicit-def: $vgpr0
	s_and_saveexec_b64 s[26:27], s[24:25]
	s_xor_b64 s[26:27], exec, s[26:27]
	s_cbranch_execz .LBB4_987
; %bb.984:                              ;   in Loop: Header=BB4_938 Depth=3
	s_trap 2
	ds_read_b32 v0, v0
	v_cmp_lt_i32_e32 vcc, 0, v50
	v_and_b32_e32 v4, 16, v59
	s_waitcnt lgkmcnt(0)
	v_readfirstlane_b32 s42, v0
	s_cmp_eq_u32 s42, 0
	s_cselect_b64 s[42:43], -1, 0
	s_and_b64 s[42:43], vcc, s[42:43]
	v_cmp_ne_u32_e32 vcc, 0, v4
	v_and_b32_e32 v0, 16, v59
	s_and_b64 s[76:77], vcc, s[42:43]
	s_and_saveexec_b64 s[42:43], s[76:77]
	s_cbranch_execz .LBB4_986
; %bb.985:                              ;   in Loop: Header=BB4_938 Depth=3
	v_mov_b32_e32 v0, 1
	s_waitcnt vmcnt(0)
	buffer_wbinvl1_vol
.LBB4_986:                              ;   in Loop: Header=BB4_938 Depth=3
	s_or_b64 exec, exec, s[42:43]
	s_andn2_saveexec_b64 s[26:27], s[26:27]
	s_cbranch_execz .LBB4_1006
	s_branch .LBB4_988
.LBB4_987:                              ;   in Loop: Header=BB4_938 Depth=3
	s_andn2_saveexec_b64 s[26:27], s[26:27]
	s_cbranch_execz .LBB4_1006
.LBB4_988:                              ;   in Loop: Header=BB4_938 Depth=3
	s_and_saveexec_b64 s[42:43], s[56:57]
	s_xor_b64 s[42:43], exec, s[42:43]
	s_cbranch_execz .LBB4_1003
; %bb.989:                              ;   in Loop: Header=BB4_938 Depth=3
	s_and_saveexec_b64 s[76:77], s[16:17]
	s_cbranch_execz .LBB4_1002
; %bb.990:                              ;   in Loop: Header=BB4_938 Depth=3
	s_mov_b64 s[88:89], exec
	v_mbcnt_lo_u32_b32 v0, s88, 0
	v_mbcnt_hi_u32_b32 v0, s89, v0
	v_cmp_eq_u32_e32 vcc, 0, v0
	;;#ASMSTART
	s_waitcnt lgkmcnt(0) vmcnt(0)
	;;#ASMEND
	s_and_saveexec_b64 s[78:79], vcc
	s_cbranch_execz .LBB4_992
; %bb.991:                              ;   in Loop: Header=BB4_938 Depth=3
	s_bcnt1_i32_b64 s88, s[88:89]
	v_mov_b32_e32 v4, s88
	v_mov_b32_e32 v5, v2
	s_waitcnt lgkmcnt(0)
	ds_add_u64 v0, v[4:5]
	s_trap 2
.LBB4_992:                              ;   in Loop: Header=BB4_938 Depth=3
	s_or_b64 exec, exec, s[78:79]
	s_trap 2
	ds_read_b64 v[4:5], v0
	s_waitcnt lgkmcnt(0)
	v_add_co_u32_e32 v12, vcc, v12, v61
	v_addc_co_u32_e32 v13, vcc, 0, v13, vcc
	v_cmp_lt_u64_e32 vcc, v[4:5], v[12:13]
	s_and_saveexec_b64 s[78:79], vcc
	s_cbranch_execz .LBB4_1001
; %bb.993:                              ;   in Loop: Header=BB4_938 Depth=3
	s_mov_b32 s34, 0
	s_mov_b64 s[88:89], 0
                                        ; implicit-def: $sgpr90_sgpr91
                                        ; implicit-def: $sgpr92_sgpr93
	s_branch .LBB4_995
.LBB4_994:                              ;   in Loop: Header=BB4_995 Depth=4
	s_or_b64 exec, exec, s[30:31]
	s_and_b64 s[94:95], exec, vcc
	s_or_b64 s[88:89], s[94:95], s[88:89]
	s_andn2_b64 s[90:91], s[90:91], exec
	s_and_b64 s[94:95], s[92:93], exec
	s_or_b64 s[90:91], s[90:91], s[94:95]
	s_andn2_b64 exec, exec, s[88:89]
	s_cbranch_execz .LBB4_999
.LBB4_995:                              ;   Parent Loop BB4_47 Depth=1
                                        ;     Parent Loop BB4_752 Depth=2
                                        ;       Parent Loop BB4_938 Depth=3
                                        ; =>      This Inner Loop Header: Depth=4
	s_add_i32 s34, s34, 1
	s_cmpk_lg_i32 s34, 0x2710
	s_cselect_b64 s[94:95], -1, 0
	s_and_b64 vcc, exec, s[94:95]
	s_cbranch_vccz .LBB4_997
; %bb.996:                              ;   in Loop: Header=BB4_995 Depth=4
	s_mov_b64 vcc, -1
	s_or_b64 s[92:93], s[92:93], exec
	s_and_saveexec_b64 s[30:31], s[94:95]
	s_cbranch_execz .LBB4_994
	s_branch .LBB4_998
.LBB4_997:                              ;   in Loop: Header=BB4_995 Depth=4
	s_trap 2
	ds_read_b64 v[4:5], v0
	s_andn2_b64 s[94:95], s[94:95], exec
	s_mov_b32 s34, 0
	s_waitcnt vmcnt(0) lgkmcnt(0)
	flat_load_dword v0, v[4:5] glc
	s_waitcnt vmcnt(0) lgkmcnt(0)
	buffer_wbinvl1_vol
	v_cmp_eq_u32_e32 vcc, 0, v0
	s_and_b64 vcc, vcc, exec
	s_or_b64 s[94:95], s[94:95], vcc
	s_mov_b64 vcc, -1
	s_or_b64 s[92:93], s[92:93], exec
	s_and_saveexec_b64 s[30:31], s[94:95]
	s_cbranch_execz .LBB4_994
.LBB4_998:                              ;   in Loop: Header=BB4_995 Depth=4
	s_sleep 1
	s_trap 2
	ds_read_b64 v[4:5], v0
	s_waitcnt lgkmcnt(0)
	s_andn2_b64 s[92:93], s[92:93], exec
	v_cmp_ge_u64_e32 vcc, v[4:5], v[12:13]
	s_orn2_b64 vcc, vcc, exec
	s_branch .LBB4_994
.LBB4_999:                              ;   in Loop: Header=BB4_938 Depth=3
	s_or_b64 exec, exec, s[88:89]
	s_and_saveexec_b64 s[88:89], s[90:91]
	s_xor_b64 s[88:89], exec, s[88:89]
	s_cbranch_execz .LBB4_1001
; %bb.1000:                             ;   in Loop: Header=BB4_938 Depth=3
	ds_write_b32 v0, v24
	s_trap 2
.LBB4_1001:                             ;   in Loop: Header=BB4_938 Depth=3
	s_or_b64 exec, exec, s[78:79]
	;;#ASMSTART
	s_wakeup
	;;#ASMEND
.LBB4_1002:                             ;   in Loop: Header=BB4_938 Depth=3
	s_or_b64 exec, exec, s[76:77]
.LBB4_1003:                             ;   in Loop: Header=BB4_938 Depth=3
	s_andn2_saveexec_b64 s[42:43], s[42:43]
	s_cbranch_execz .LBB4_1005
; %bb.1004:                             ;   in Loop: Header=BB4_938 Depth=3
	;;#ASMSTART
	s_waitcnt lgkmcnt(0) vmcnt(0)
	;;#ASMEND
	s_waitcnt vmcnt(0) lgkmcnt(0)
	s_barrier
.LBB4_1005:                             ;   in Loop: Header=BB4_938 Depth=3
	s_or_b64 exec, exec, s[42:43]
	v_and_b32_e32 v0, 16, v59
.LBB4_1006:                             ;   in Loop: Header=BB4_938 Depth=3
	s_or_b64 exec, exec, s[26:27]
	v_cmp_ne_u32_e32 vcc, 0, v0
	s_xor_b64 s[26:27], s[12:13], -1
	s_and_b64 s[42:43], vcc, s[26:27]
	s_and_saveexec_b64 s[26:27], s[42:43]
	s_cbranch_execz .LBB4_1008
; %bb.1007:                             ;   in Loop: Header=BB4_938 Depth=3
	s_waitcnt vmcnt(0)
	flat_store_dword v[56:57], v24
.LBB4_1008:                             ;   in Loop: Header=BB4_938 Depth=3
	s_or_b64 exec, exec, s[26:27]
	v_and_b32_e32 v0, 48, v59
	v_cmp_ne_u32_e32 vcc, 0, v0
	s_and_saveexec_b64 s[26:27], vcc
	s_cbranch_execz .LBB4_937
; %bb.1009:                             ;   in Loop: Header=BB4_938 Depth=3
	v_add_co_u32_e32 v36, vcc, 2, v36
	v_addc_co_u32_e32 v37, vcc, 0, v37, vcc
	flat_store_dwordx2 v[20:21], v[36:37]
	s_branch .LBB4_937
.LBB4_1010:                             ;   in Loop: Header=BB4_752 Depth=2
	s_or_b64 exec, exec, s[40:41]
.LBB4_1011:                             ;   in Loop: Header=BB4_752 Depth=2
	s_or_b64 exec, exec, s[28:29]
	buffer_load_dword v50, off, s[0:3], s33 offset:148 ; 4-byte Folded Reload
	buffer_load_dword v51, off, s[0:3], s33 offset:152 ; 4-byte Folded Reload
	s_add_i32 s26, s75, 1
	s_cmp_eq_u32 s75, s69
	s_cbranch_scc1 .LBB4_1013
; %bb.1012:                             ;   in Loop: Header=BB4_752 Depth=2
	s_mov_b32 s75, s26
	s_branch .LBB4_752
.LBB4_1013:                             ;   in Loop: Header=BB4_47 Depth=1
	buffer_load_dword v16, off, s[0:3], s33 offset:132 ; 4-byte Folded Reload
	buffer_load_dword v17, off, s[0:3], s33 offset:136 ; 4-byte Folded Reload
	;; [unrolled: 1-line block ×4, first 2 shown]
	s_waitcnt vmcnt(0)
	v_mov_b32_e32 v8, 0
	v_mul_lo_u32 v3, v5, s71
	v_mul_lo_u32 v0, v6, s70
	v_mad_u64_u32 v[9:10], s[26:27], v5, s70, 0
	v_add3_u32 v10, v10, v3, v0
	buffer_load_dword v3, off, s[0:3], s33 offset:108 ; 4-byte Folded Reload
	buffer_load_dword v4, off, s[0:3], s33 offset:112 ; 4-byte Folded Reload
	v_mov_b32_e32 v0, 0
	s_waitcnt vmcnt(0)
	v_sub_co_u32_e32 v3, vcc, v3, v9
	v_subb_co_u32_e32 v4, vcc, v4, v10, vcc
	v_cmp_lt_i64_e32 vcc, v[5:6], v[3:4]
	v_cndmask_b32_e32 v4, v3, v5, vcc
	v_max_i32_e32 v3, 0, v4
	v_add_u32_e32 v5, 31, v3
	v_lshrrev_b32_e32 v5, 1, v5
	v_and_b32_e32 v5, 0x3ffffff0, v5
	v_cmp_lt_i32_e32 vcc, 0, v4
	v_max_i32_e32 v54, s68, v5
	s_and_b64 s[26:27], s[72:73], vcc
	s_and_saveexec_b64 s[28:29], s[26:27]
	s_cbranch_execz .LBB4_1154
; %bb.1014:                             ;   in Loop: Header=BB4_47 Depth=1
	v_add_co_u32_e32 v4, vcc, v9, v16
	v_addc_co_u32_e32 v5, vcc, v10, v17, vcc
	v_lshlrev_b64 v[10:11], 2, v[4:5]
	s_mov_b32 s75, 1
	s_mov_b64 s[42:43], -1
	v_mov_b32_e32 v8, 0
	s_mov_b64 s[40:41], 0
	s_branch .LBB4_1016
.LBB4_1015:                             ;   in Loop: Header=BB4_1016 Depth=2
	s_or_b64 exec, exec, s[26:27]
	v_add_u32_e32 v8, v54, v8
	v_cmp_ge_i32_e32 vcc, v8, v3
	s_xor_b64 s[26:27], s[42:43], -1
	s_or_b64 s[26:27], s[26:27], vcc
	s_and_b64 s[26:27], exec, s[26:27]
	s_or_b64 s[40:41], s[26:27], s[40:41]
	s_mov_b64 s[42:43], 0
	v_mov_b32_e32 v0, s75
	s_mov_b32 s75, 2
	s_andn2_b64 exec, exec, s[40:41]
	s_cbranch_execz .LBB4_1153
.LBB4_1016:                             ;   Parent Loop BB4_47 Depth=1
                                        ; =>  This Loop Header: Depth=2
                                        ;       Child Loop BB4_1024 Depth 3
                                        ;       Child Loop BB4_1048 Depth 3
	;; [unrolled: 1-line block ×9, first 2 shown]
	s_and_saveexec_b64 s[26:27], s[4:5]
	s_cbranch_execz .LBB4_1018
; %bb.1017:                             ;   in Loop: Header=BB4_1016 Depth=2
	s_trap 2
	ds_read_b128 v[4:7], v0
	v_ashrrev_i32_e32 v9, 31, v8
	s_waitcnt lgkmcnt(0)
	v_add_co_u32_e32 v0, vcc, v4, v10
	v_addc_co_u32_e32 v17, vcc, v5, v11, vcc
	v_lshlrev_b64 v[4:5], 2, v[8:9]
	v_add_co_u32_e32 v16, vcc, v0, v4
	v_addc_co_u32_e32 v17, vcc, v17, v5, vcc
	ds_write_b64 v0, v[16:17]
	v_add_co_u32_e32 v0, vcc, v6, v10
	v_addc_co_u32_e32 v9, vcc, v7, v11, vcc
	v_add_co_u32_e32 v0, vcc, v0, v4
	v_addc_co_u32_e32 v4, vcc, v9, v5, vcc
	v_cmp_ne_u64_e32 vcc, 0, v[6:7]
	v_cndmask_b32_e32 v5, 0, v4, vcc
	v_cndmask_b32_e32 v4, 0, v0, vcc
	ds_write_b64 v0, v[4:5]
.LBB4_1018:                             ;   in Loop: Header=BB4_1016 Depth=2
	s_or_b64 exec, exec, s[26:27]
	v_and_b32_e32 v0, 4, v59
	v_cmp_ne_u32_e32 vcc, 0, v0
	s_and_saveexec_b64 s[76:77], vcc
	s_cbranch_execz .LBB4_1040
; %bb.1019:                             ;   in Loop: Header=BB4_1016 Depth=2
	v_add_co_u32_e32 v38, vcc, 2, v36
	v_addc_co_u32_e32 v39, vcc, 0, v37, vcc
	s_waitcnt vmcnt(0) lgkmcnt(0)
	v_cmp_lt_u64_e32 vcc, v[26:27], v[38:39]
	s_and_saveexec_b64 s[78:79], vcc
	s_cbranch_execz .LBB4_1031
; %bb.1020:                             ;   in Loop: Header=BB4_1016 Depth=2
	v_and_b32_e32 v0, 64, v59
	s_mov_b32 s50, 0
	v_cmp_eq_u32_e32 vcc, 0, v0
	s_mov_b64 s[88:89], 0
                                        ; implicit-def: $sgpr90_sgpr91
                                        ; implicit-def: $sgpr92_sgpr93
                                        ; implicit-def: $sgpr94_sgpr95
	s_branch .LBB4_1024
.LBB4_1021:                             ;   in Loop: Header=BB4_1024 Depth=3
	s_waitcnt vmcnt(0) lgkmcnt(0)
	v_cmp_ge_u64_e64 s[26:27], v[26:27], v[38:39]
	s_or_b64 s[36:37], s[36:37], exec
	s_orn2_b64 s[34:35], s[26:27], exec
.LBB4_1022:                             ;   in Loop: Header=BB4_1024 Depth=3
	s_or_b64 exec, exec, s[48:49]
	s_andn2_b64 s[26:27], s[94:95], exec
	s_and_b64 s[94:95], s[36:37], exec
	s_or_b64 s[94:95], s[26:27], s[94:95]
	s_andn2_b64 s[26:27], s[92:93], exec
	s_and_b64 s[92:93], s[34:35], exec
	s_or_b64 s[92:93], s[26:27], s[92:93]
.LBB4_1023:                             ;   in Loop: Header=BB4_1024 Depth=3
	s_or_b64 exec, exec, s[30:31]
	s_and_b64 s[26:27], exec, s[92:93]
	s_or_b64 s[88:89], s[26:27], s[88:89]
	s_andn2_b64 s[26:27], s[90:91], exec
	s_and_b64 s[90:91], s[94:95], exec
	s_or_b64 s[90:91], s[26:27], s[90:91]
	s_andn2_b64 exec, exec, s[88:89]
	s_cbranch_execz .LBB4_1028
.LBB4_1024:                             ;   Parent Loop BB4_47 Depth=1
                                        ;     Parent Loop BB4_1016 Depth=2
                                        ; =>    This Inner Loop Header: Depth=3
	s_sleep 1
	s_waitcnt vmcnt(0) lgkmcnt(0)
	flat_load_dwordx2 v[26:27], v[20:21] glc
	s_or_b64 s[94:95], s[94:95], exec
	s_or_b64 s[92:93], s[92:93], exec
                                        ; implicit-def: $vgpr0
	s_and_saveexec_b64 s[30:31], vcc
	s_cbranch_execz .LBB4_1023
; %bb.1025:                             ;   in Loop: Header=BB4_1024 Depth=3
	s_cmpk_lt_i32 s50, 0x270f
	s_cselect_b64 s[38:39], -1, 0
	s_cmpk_gt_i32 s50, 0x270e
	s_mov_b64 s[34:35], -1
	s_cbranch_scc0 .LBB4_1027
; %bb.1026:                             ;   in Loop: Header=BB4_1024 Depth=3
	s_trap 2
	ds_read_b64 v[4:5], v0
	s_andn2_b64 s[38:39], s[38:39], exec
	s_mov_b32 s50, 0
	s_mov_b64 s[36:37], 0
	s_waitcnt vmcnt(0) lgkmcnt(0)
	flat_load_dword v0, v[4:5] glc
	s_waitcnt vmcnt(0) lgkmcnt(0)
	buffer_wbinvl1_vol
	v_cmp_eq_u32_e64 s[26:27], 0, v0
	s_and_b64 s[26:27], s[26:27], exec
	s_or_b64 s[38:39], s[38:39], s[26:27]
	s_and_saveexec_b64 s[48:49], s[38:39]
	s_cbranch_execz .LBB4_1022
	s_branch .LBB4_1021
.LBB4_1027:                             ;   in Loop: Header=BB4_1024 Depth=3
	s_add_i32 s50, s50, 1
	s_mov_b64 s[36:37], -1
                                        ; implicit-def: $vgpr0
	s_and_saveexec_b64 s[48:49], s[38:39]
	s_cbranch_execz .LBB4_1022
	s_branch .LBB4_1021
.LBB4_1028:                             ;   in Loop: Header=BB4_1016 Depth=2
	s_or_b64 exec, exec, s[88:89]
	s_xor_b64 s[26:27], s[90:91], -1
	s_and_saveexec_b64 s[88:89], s[26:27]
	s_xor_b64 s[26:27], exec, s[88:89]
	s_cbranch_execz .LBB4_1030
; %bb.1029:                             ;   in Loop: Header=BB4_1016 Depth=2
	v_or_b32_e32 v59, 64, v59
	s_waitcnt lgkmcnt(0)
	ds_write_b32 v0, v0
	s_trap 2
.LBB4_1030:                             ;   in Loop: Header=BB4_1016 Depth=2
	s_or_b64 exec, exec, s[26:27]
.LBB4_1031:                             ;   in Loop: Header=BB4_1016 Depth=2
	s_or_b64 exec, exec, s[78:79]
	v_and_b32_e32 v0, 0x100, v59
	v_cmp_ne_u32_e32 vcc, 0, v0
	v_and_b32_e32 v0, 7, v36
	s_mov_b64 s[26:27], -1
	;;#ASMSTART
	s_wakeup
	;;#ASMEND
                                        ; implicit-def: $vgpr36_vgpr37
	s_and_saveexec_b64 s[78:79], vcc
	s_cbranch_execz .LBB4_1035
; %bb.1032:                             ;   in Loop: Header=BB4_1016 Depth=2
	v_mad_u64_u32 v[48:49], s[26:27], v0, 24, v[42:43]
                                        ; implicit-def: $vgpr36_vgpr37
	flat_load_dword v4, v[48:49]
	s_waitcnt vmcnt(0) lgkmcnt(0)
	v_cmp_ne_u32_e32 vcc, 1, v4
	v_cmp_eq_u32_e64 s[26:27], 1, v4
	s_and_saveexec_b64 s[88:89], s[26:27]
	s_cbranch_execz .LBB4_1034
; %bb.1033:                             ;   in Loop: Header=BB4_1016 Depth=2
	flat_load_dword v4, v[48:49] offset:4 glc
	s_waitcnt vmcnt(0) lgkmcnt(0)
	v_ashrrev_i32_e32 v5, 31, v4
	v_lshrrev_b64 v[36:37], 2, v[4:5]
.LBB4_1034:                             ;   in Loop: Header=BB4_1016 Depth=2
	s_or_b64 exec, exec, s[88:89]
	s_orn2_b64 s[26:27], vcc, exec
	v_ashrrev_i32_e32 v49, 31, v1
.LBB4_1035:                             ;   in Loop: Header=BB4_1016 Depth=2
	s_or_b64 exec, exec, s[78:79]
	s_and_saveexec_b64 s[78:79], s[26:27]
; %bb.1036:                             ;   in Loop: Header=BB4_1016 Depth=2
	v_mad_i64_i32 v[36:37], s[26:27], v0, v60, 0
; %bb.1037:                             ;   in Loop: Header=BB4_1016 Depth=2
	s_or_b64 exec, exec, s[78:79]
	v_lshlrev_b64 v[4:5], 2, v[36:37]
	v_add_co_u32_e32 v4, vcc, v29, v4
	v_addc_co_u32_e32 v5, vcc, v30, v5, vcc
	ds_write_b64 v0, v[4:5] offset:720
	v_and_b32_e32 v0, 0x2000, v59
	v_cmp_ne_u32_e32 vcc, 0, v0
	s_and_saveexec_b64 s[26:27], vcc
	s_cbranch_execz .LBB4_1039
; %bb.1038:                             ;   in Loop: Header=BB4_1016 Depth=2
	ds_read_b64 v[4:5], v0 offset:872
	s_waitcnt lgkmcnt(0)
	v_add_co_u32_e32 v4, vcc, 1, v4
	v_addc_co_u32_e32 v5, vcc, 0, v5, vcc
	ds_write_b64 v0, v[4:5] offset:872
.LBB4_1039:                             ;   in Loop: Header=BB4_1016 Depth=2
	s_or_b64 exec, exec, s[26:27]
	v_mov_b32_e32 v36, v38
	v_mov_b32_e32 v37, v39
.LBB4_1040:                             ;   in Loop: Header=BB4_1016 Depth=2
	s_or_b64 exec, exec, s[76:77]
	s_and_saveexec_b64 s[26:27], s[10:11]
	s_cbranch_execz .LBB4_1059
; %bb.1041:                             ;   in Loop: Header=BB4_1016 Depth=2
	s_and_saveexec_b64 s[76:77], s[56:57]
	s_xor_b64 s[76:77], exec, s[76:77]
	s_cbranch_execz .LBB4_1056
; %bb.1042:                             ;   in Loop: Header=BB4_1016 Depth=2
	s_and_saveexec_b64 s[78:79], s[16:17]
	s_cbranch_execz .LBB4_1055
; %bb.1043:                             ;   in Loop: Header=BB4_1016 Depth=2
	s_mov_b64 s[90:91], exec
	v_mbcnt_lo_u32_b32 v0, s90, 0
	v_mbcnt_hi_u32_b32 v0, s91, v0
	v_cmp_eq_u32_e32 vcc, 0, v0
	s_waitcnt vmcnt(0) lgkmcnt(0)
	buffer_wbinvl1_vol
	s_and_saveexec_b64 s[88:89], vcc
	s_cbranch_execz .LBB4_1045
; %bb.1044:                             ;   in Loop: Header=BB4_1016 Depth=2
	s_bcnt1_i32_b64 s90, s[90:91]
	v_mov_b32_e32 v4, s90
	v_mov_b32_e32 v5, v2
	ds_add_u64 v0, v[4:5]
	s_trap 2
.LBB4_1045:                             ;   in Loop: Header=BB4_1016 Depth=2
	s_or_b64 exec, exec, s[88:89]
	s_trap 2
	ds_read_b64 v[4:5], v0
	s_waitcnt lgkmcnt(0)
	v_add_co_u32_e32 v12, vcc, v12, v61
	v_addc_co_u32_e32 v13, vcc, 0, v13, vcc
	v_cmp_lt_u64_e32 vcc, v[4:5], v[12:13]
	s_and_saveexec_b64 s[88:89], vcc
	s_cbranch_execz .LBB4_1054
; %bb.1046:                             ;   in Loop: Header=BB4_1016 Depth=2
	s_mov_b32 s36, 0
	s_mov_b64 s[90:91], 0
                                        ; implicit-def: $sgpr92_sgpr93
                                        ; implicit-def: $sgpr94_sgpr95
	s_branch .LBB4_1048
.LBB4_1047:                             ;   in Loop: Header=BB4_1048 Depth=3
	s_or_b64 exec, exec, s[34:35]
	s_and_b64 vcc, exec, vcc
	s_or_b64 s[90:91], vcc, s[90:91]
	s_andn2_b64 s[92:93], s[92:93], exec
	s_and_b64 vcc, s[94:95], exec
	s_or_b64 s[92:93], s[92:93], vcc
	s_andn2_b64 exec, exec, s[90:91]
	s_cbranch_execz .LBB4_1052
.LBB4_1048:                             ;   Parent Loop BB4_47 Depth=1
                                        ;     Parent Loop BB4_1016 Depth=2
                                        ; =>    This Inner Loop Header: Depth=3
	s_add_i32 s36, s36, 1
	s_cmpk_lg_i32 s36, 0x2710
	s_cselect_b64 s[30:31], -1, 0
	s_and_b64 vcc, exec, s[30:31]
	s_cbranch_vccz .LBB4_1050
; %bb.1049:                             ;   in Loop: Header=BB4_1048 Depth=3
	s_mov_b64 vcc, -1
	s_or_b64 s[94:95], s[94:95], exec
	s_and_saveexec_b64 s[34:35], s[30:31]
	s_cbranch_execz .LBB4_1047
	s_branch .LBB4_1051
.LBB4_1050:                             ;   in Loop: Header=BB4_1048 Depth=3
	s_trap 2
	ds_read_b64 v[4:5], v0
	s_andn2_b64 s[30:31], s[30:31], exec
	s_mov_b32 s36, 0
	s_waitcnt lgkmcnt(0)
	flat_load_dword v0, v[4:5] glc
	s_waitcnt vmcnt(0) lgkmcnt(0)
	buffer_wbinvl1_vol
	v_cmp_eq_u32_e32 vcc, 0, v0
	s_and_b64 vcc, vcc, exec
	s_or_b64 s[30:31], s[30:31], vcc
	s_mov_b64 vcc, -1
	s_or_b64 s[94:95], s[94:95], exec
	s_and_saveexec_b64 s[34:35], s[30:31]
	s_cbranch_execz .LBB4_1047
.LBB4_1051:                             ;   in Loop: Header=BB4_1048 Depth=3
	s_sleep 1
	s_trap 2
	ds_read_b64 v[4:5], v0
	s_waitcnt lgkmcnt(0)
	s_andn2_b64 s[94:95], s[94:95], exec
	v_cmp_ge_u64_e32 vcc, v[4:5], v[12:13]
	s_orn2_b64 vcc, vcc, exec
	s_branch .LBB4_1047
.LBB4_1052:                             ;   in Loop: Header=BB4_1016 Depth=2
	s_or_b64 exec, exec, s[90:91]
	s_and_saveexec_b64 s[90:91], s[92:93]
	s_xor_b64 s[90:91], exec, s[90:91]
	s_cbranch_execz .LBB4_1054
; %bb.1053:                             ;   in Loop: Header=BB4_1016 Depth=2
	ds_write_b32 v0, v24
	s_trap 2
.LBB4_1054:                             ;   in Loop: Header=BB4_1016 Depth=2
	s_or_b64 exec, exec, s[88:89]
	;;#ASMSTART
	s_wakeup
	;;#ASMEND
.LBB4_1055:                             ;   in Loop: Header=BB4_1016 Depth=2
	s_or_b64 exec, exec, s[78:79]
.LBB4_1056:                             ;   in Loop: Header=BB4_1016 Depth=2
	s_andn2_saveexec_b64 s[76:77], s[76:77]
	s_cbranch_execz .LBB4_1058
; %bb.1057:                             ;   in Loop: Header=BB4_1016 Depth=2
	s_waitcnt vmcnt(0) lgkmcnt(0)
	buffer_wbinvl1_vol
	s_barrier
.LBB4_1058:                             ;   in Loop: Header=BB4_1016 Depth=2
	s_or_b64 exec, exec, s[76:77]
.LBB4_1059:                             ;   in Loop: Header=BB4_1016 Depth=2
	s_or_b64 exec, exec, s[26:27]
	s_trap 2
	ds_read_b32 v0, v0
	v_and_b32_e32 v4, 0x4000, v59
	v_cmp_ne_u32_e32 vcc, 0, v4
	s_xor_b64 s[26:27], s[6:7], -1
	s_and_b64 s[76:77], s[26:27], vcc
	s_and_saveexec_b64 s[26:27], s[76:77]
	s_cbranch_execz .LBB4_1078
; %bb.1060:                             ;   in Loop: Header=BB4_1016 Depth=2
	s_and_saveexec_b64 s[76:77], s[56:57]
	s_xor_b64 s[76:77], exec, s[76:77]
	s_cbranch_execz .LBB4_1075
; %bb.1061:                             ;   in Loop: Header=BB4_1016 Depth=2
	s_and_saveexec_b64 s[78:79], s[16:17]
	s_cbranch_execz .LBB4_1074
; %bb.1062:                             ;   in Loop: Header=BB4_1016 Depth=2
	s_mov_b64 s[90:91], exec
	v_mbcnt_lo_u32_b32 v4, s90, 0
	v_mbcnt_hi_u32_b32 v4, s91, v4
	v_cmp_eq_u32_e32 vcc, 0, v4
	s_waitcnt vmcnt(0) lgkmcnt(0)
	buffer_wbinvl1_vol
	s_and_saveexec_b64 s[88:89], vcc
	s_cbranch_execz .LBB4_1064
; %bb.1063:                             ;   in Loop: Header=BB4_1016 Depth=2
	s_bcnt1_i32_b64 s90, s[90:91]
	v_mov_b32_e32 v4, s90
	v_mov_b32_e32 v5, v2
	ds_add_u64 v0, v[4:5]
	s_trap 2
.LBB4_1064:                             ;   in Loop: Header=BB4_1016 Depth=2
	s_or_b64 exec, exec, s[88:89]
	s_trap 2
	ds_read_b64 v[4:5], v0
	s_waitcnt lgkmcnt(0)
	v_add_co_u32_e32 v12, vcc, v12, v61
	v_addc_co_u32_e32 v13, vcc, 0, v13, vcc
	v_cmp_lt_u64_e32 vcc, v[4:5], v[12:13]
	s_and_saveexec_b64 s[88:89], vcc
	s_cbranch_execz .LBB4_1073
; %bb.1065:                             ;   in Loop: Header=BB4_1016 Depth=2
	s_mov_b32 s36, 0
	s_mov_b64 s[90:91], 0
                                        ; implicit-def: $sgpr92_sgpr93
                                        ; implicit-def: $sgpr94_sgpr95
	s_branch .LBB4_1067
.LBB4_1066:                             ;   in Loop: Header=BB4_1067 Depth=3
	s_or_b64 exec, exec, s[34:35]
	s_and_b64 vcc, exec, vcc
	s_or_b64 s[90:91], vcc, s[90:91]
	s_andn2_b64 s[92:93], s[92:93], exec
	s_and_b64 vcc, s[94:95], exec
	s_or_b64 s[92:93], s[92:93], vcc
	s_andn2_b64 exec, exec, s[90:91]
	s_cbranch_execz .LBB4_1071
.LBB4_1067:                             ;   Parent Loop BB4_47 Depth=1
                                        ;     Parent Loop BB4_1016 Depth=2
                                        ; =>    This Inner Loop Header: Depth=3
	s_add_i32 s36, s36, 1
	s_cmpk_lg_i32 s36, 0x2710
	s_cselect_b64 s[30:31], -1, 0
	s_and_b64 vcc, exec, s[30:31]
	s_cbranch_vccz .LBB4_1069
; %bb.1068:                             ;   in Loop: Header=BB4_1067 Depth=3
	s_mov_b64 vcc, -1
	s_or_b64 s[94:95], s[94:95], exec
	s_and_saveexec_b64 s[34:35], s[30:31]
	s_cbranch_execz .LBB4_1066
	s_branch .LBB4_1070
.LBB4_1069:                             ;   in Loop: Header=BB4_1067 Depth=3
	s_trap 2
	ds_read_b64 v[4:5], v0
	s_andn2_b64 s[30:31], s[30:31], exec
	s_mov_b32 s36, 0
	s_waitcnt lgkmcnt(0)
	flat_load_dword v4, v[4:5] glc
	s_waitcnt vmcnt(0) lgkmcnt(0)
	buffer_wbinvl1_vol
	v_cmp_eq_u32_e32 vcc, 0, v4
	s_and_b64 vcc, vcc, exec
	s_or_b64 s[30:31], s[30:31], vcc
	s_mov_b64 vcc, -1
	s_or_b64 s[94:95], s[94:95], exec
	s_and_saveexec_b64 s[34:35], s[30:31]
	s_cbranch_execz .LBB4_1066
.LBB4_1070:                             ;   in Loop: Header=BB4_1067 Depth=3
	s_sleep 1
	s_trap 2
	ds_read_b64 v[4:5], v0
	s_waitcnt lgkmcnt(0)
	s_andn2_b64 s[94:95], s[94:95], exec
	v_cmp_ge_u64_e32 vcc, v[4:5], v[12:13]
	s_orn2_b64 vcc, vcc, exec
	s_branch .LBB4_1066
.LBB4_1071:                             ;   in Loop: Header=BB4_1016 Depth=2
	s_or_b64 exec, exec, s[90:91]
	s_and_saveexec_b64 s[90:91], s[92:93]
	s_xor_b64 s[90:91], exec, s[90:91]
	s_cbranch_execz .LBB4_1073
; %bb.1072:                             ;   in Loop: Header=BB4_1016 Depth=2
	ds_write_b32 v0, v24
	s_trap 2
.LBB4_1073:                             ;   in Loop: Header=BB4_1016 Depth=2
	s_or_b64 exec, exec, s[88:89]
	;;#ASMSTART
	s_wakeup
	;;#ASMEND
.LBB4_1074:                             ;   in Loop: Header=BB4_1016 Depth=2
	s_or_b64 exec, exec, s[78:79]
.LBB4_1075:                             ;   in Loop: Header=BB4_1016 Depth=2
	s_andn2_saveexec_b64 s[76:77], s[76:77]
	s_cbranch_execz .LBB4_1077
; %bb.1076:                             ;   in Loop: Header=BB4_1016 Depth=2
	s_waitcnt vmcnt(0) lgkmcnt(0)
	buffer_wbinvl1_vol
	s_barrier
.LBB4_1077:                             ;   in Loop: Header=BB4_1016 Depth=2
	s_or_b64 exec, exec, s[76:77]
.LBB4_1078:                             ;   in Loop: Header=BB4_1016 Depth=2
	s_or_b64 exec, exec, s[26:27]
	s_trap 2
	s_waitcnt lgkmcnt(0)
	ds_read_b64 v[38:39], v0
	v_sub_u32_e32 v4, v3, v8
	v_min_i32_e32 v54, v54, v4
	s_waitcnt lgkmcnt(0)
	v_cmp_eq_u64_e32 vcc, 0, v[38:39]
	s_cbranch_vccnz .LBB4_1086
; %bb.1079:                             ;   in Loop: Header=BB4_1016 Depth=2
	s_trap 2
	ds_read_b64 v[48:49], v0
	s_waitcnt lgkmcnt(0)
	v_cmp_eq_u64_e32 vcc, 0, v[48:49]
	s_cbranch_vccnz .LBB4_1091
; %bb.1080:                             ;   in Loop: Header=BB4_1016 Depth=2
	s_mov_b64 s[26:27], -1
	s_and_saveexec_b64 s[76:77], s[20:21]
	s_cbranch_execz .LBB4_1082
; %bb.1081:                             ;   in Loop: Header=BB4_1016 Depth=2
	ds_read_b32 v4, v0 offset:720
	s_waitcnt lgkmcnt(0)
	v_and_b32_e32 v4, 15, v4
	v_cmp_eq_u32_e32 vcc, 0, v4
	s_orn2_b64 s[26:27], vcc, exec
.LBB4_1082:                             ;   in Loop: Header=BB4_1016 Depth=2
	s_or_b64 exec, exec, s[76:77]
	s_and_saveexec_b64 s[76:77], s[18:19]
	s_cbranch_execz .LBB4_1084
; %bb.1083:                             ;   in Loop: Header=BB4_1016 Depth=2
	ds_read_b32 v4, v0 offset:784
	s_waitcnt lgkmcnt(0)
	v_and_b32_e32 v4, 15, v4
	v_cmp_eq_u32_e32 vcc, 0, v4
	s_and_b64 s[78:79], s[26:27], vcc
	s_andn2_b64 s[26:27], s[26:27], exec
	s_and_b64 s[78:79], s[78:79], exec
	s_or_b64 s[26:27], s[26:27], s[78:79]
.LBB4_1084:                             ;   in Loop: Header=BB4_1016 Depth=2
	s_or_b64 exec, exec, s[76:77]
	v_cmp_eq_u32_e32 vcc, 0, v0
	s_xor_b64 s[26:27], s[26:27], -1
	v_cndmask_b32_e32 v9, 0, v54, vcc
	v_cndmask_b32_e64 v0, 0, 1, s[26:27]
	v_lshlrev_b32_e32 v55, 2, v9
	s_mov_b64 s[78:79], -1
	v_cmp_ne_u32_e32 vcc, 0, v0
	v_mov_b32_e32 v0, 0
	s_cbranch_vccz .LBB4_1092
; %bb.1085:                             ;   in Loop: Header=BB4_1016 Depth=2
	v_mov_b32_e32 v40, v58
	s_waitcnt vmcnt(0)
	v_mov_b32_e32 v35, v32
	s_and_saveexec_b64 s[26:27], s[78:79]
	s_cbranch_execnz .LBB4_1105
	s_branch .LBB4_1113
.LBB4_1086:                             ;   in Loop: Header=BB4_1016 Depth=2
	s_mov_b64 s[26:27], 0
	s_and_saveexec_b64 s[76:77], s[10:11]
	s_cbranch_execnz .LBB4_1114
.LBB4_1087:                             ;   in Loop: Header=BB4_1016 Depth=2
	s_or_b64 exec, exec, s[76:77]
	s_and_saveexec_b64 s[76:77], s[24:25]
	s_xor_b64 s[76:77], exec, s[76:77]
	s_cbranch_execz .LBB4_1132
.LBB4_1088:                             ;   in Loop: Header=BB4_1016 Depth=2
	v_and_b32_e32 v0, 16, v59
	v_cmp_ne_u32_e32 vcc, 0, v0
	s_and_b64 s[78:79], vcc, s[26:27]
	s_and_saveexec_b64 s[26:27], s[78:79]
	s_cbranch_execz .LBB4_1090
; %bb.1089:                             ;   in Loop: Header=BB4_1016 Depth=2
	s_waitcnt vmcnt(0) lgkmcnt(0)
	buffer_wbinvl1_vol
.LBB4_1090:                             ;   in Loop: Header=BB4_1016 Depth=2
	s_or_b64 exec, exec, s[26:27]
	s_andn2_saveexec_b64 s[26:27], s[76:77]
	s_cbranch_execz .LBB4_1151
	s_branch .LBB4_1133
.LBB4_1091:                             ;   in Loop: Header=BB4_1016 Depth=2
	s_mov_b64 s[26:27], 0
	v_ashrrev_i32_e32 v49, 31, v1
	s_and_saveexec_b64 s[76:77], s[10:11]
	s_cbranch_execnz .LBB4_1114
	s_branch .LBB4_1087
.LBB4_1092:                             ;   in Loop: Header=BB4_1016 Depth=2
	v_ashrrev_i32_e32 v0, 31, v55
	v_lshrrev_b32_e32 v0, 20, v0
	v_add_u32_e32 v0, v55, v0
	v_ashrrev_i32_e32 v0, 12, v0
	s_waitcnt vmcnt(0)
	v_sub_u32_e32 v41, v0, v32
	v_cmp_lt_i32_e32 vcc, 0, v41
	s_and_saveexec_b64 s[26:27], vcc
	s_cbranch_execz .LBB4_1096
; %bb.1093:                             ;   in Loop: Header=BB4_1016 Depth=2
	v_mov_b32_e32 v51, v49
	v_mov_b32_e32 v53, v39
	s_mov_b64 s[76:77], 0
	v_mov_b32_e32 v50, v48
	v_mov_b32_e32 v52, v38
	v_ashrrev_i32_e32 v35, 31, v1
.LBB4_1094:                             ;   Parent Loop BB4_47 Depth=1
                                        ;     Parent Loop BB4_1016 Depth=2
                                        ; =>    This Inner Loop Header: Depth=3
	v_add_co_u32_e32 v31, vcc, v1, v52
	v_addc_co_u32_e32 v32, vcc, v35, v53, vcc
	global_load_dwordx4 v[4:7], v[31:32], off glc slc
	global_load_dwordx4 v[16:19], v[31:32], off offset:1024 glc slc
	global_load_dwordx4 v[22:25], v[31:32], off offset:2048 glc slc
	s_nop 0
	global_load_dwordx4 v[31:34], v[31:32], off offset:3072 glc slc
	v_add_co_u32_e32 v42, vcc, v1, v50
	v_addc_co_u32_e32 v43, vcc, v35, v51, vcc
	v_add_co_u32_e32 v52, vcc, v52, v62
	v_addc_co_u32_e32 v53, vcc, 0, v53, vcc
	v_add_co_u32_e32 v50, vcc, v50, v62
	v_sub_u32_e32 v41, v41, v61
	v_addc_co_u32_e32 v51, vcc, 0, v51, vcc
	v_cmp_gt_i32_e32 vcc, 1, v41
	s_or_b64 s[76:77], vcc, s[76:77]
	s_waitcnt vmcnt(0)
	global_store_dwordx4 v[42:43], v[4:7], off glc slc
	global_store_dwordx4 v[42:43], v[16:19], off offset:1024 glc slc
	global_store_dwordx4 v[42:43], v[22:25], off offset:2048 glc slc
	global_store_dwordx4 v[42:43], v[31:34], off offset:3072 glc slc
	s_andn2_b64 exec, exec, s[76:77]
	s_cbranch_execnz .LBB4_1094
; %bb.1095:                             ;   in Loop: Header=BB4_1016 Depth=2
	s_or_b64 exec, exec, s[76:77]
	buffer_load_dword v42, off, s[0:3], s33 offset:60 ; 4-byte Folded Reload
	buffer_load_dword v43, off, s[0:3], s33 offset:64 ; 4-byte Folded Reload
	;; [unrolled: 1-line block ×9, first 2 shown]
	v_ashrrev_i32_e32 v33, 31, v60
	v_mov_b32_e32 v24, 1
	v_mov_b32_e32 v31, 0x90
.LBB4_1096:                             ;   in Loop: Header=BB4_1016 Depth=2
	s_or_b64 exec, exec, s[26:27]
	v_lshlrev_b32_e32 v34, 12, v0
	v_cmp_ne_u32_e32 vcc, v55, v34
	s_mov_b64 s[78:79], 0
	v_mov_b32_e32 v0, 0
                                        ; implicit-def: $vgpr40
                                        ; implicit-def: $vgpr35
	s_and_saveexec_b64 s[76:77], vcc
	s_cbranch_execz .LBB4_1104
; %bb.1097:                             ;   in Loop: Header=BB4_1016 Depth=2
	buffer_load_dword v5, off, s[0:3], s33 offset:100 ; 4-byte Folded Reload
	v_lshlrev_b32_e32 v0, 6, v41
	v_sub_u32_e32 v4, v55, v34
	s_waitcnt vmcnt(0)
	v_sub_u32_e32 v0, v5, v0
	v_ashrrev_i32_e32 v5, 31, v0
	v_lshrrev_b32_e32 v5, 26, v5
	v_add_u32_e32 v5, v0, v5
	v_ashrrev_i32_e32 v6, 6, v5
	v_and_b32_e32 v5, 0xffffffc0, v5
	v_sub_u32_e32 v50, v0, v5
	v_ashrrev_i32_e32 v5, 31, v4
	v_lshrrev_b32_e32 v5, 22, v5
	v_add_u32_e32 v5, v4, v5
	v_and_b32_e32 v51, 0xfffffc00, v5
	v_lshlrev_b32_e32 v0, 4, v50
	v_sub_u32_e32 v53, v4, v51
	v_lshl_add_u32 v35, v6, 10, v0
	v_ashrrev_i32_e32 v7, 10, v5
	v_cmp_lt_i32_e32 vcc, 15, v53
	v_sub_u32_e32 v0, v4, v35
	v_addc_co_u32_e64 v4, s[26:27], 0, v7, vcc
	v_sub_u32_e32 v52, v4, v6
	v_cmp_lt_i32_e64 s[26:27], 15, v0
	s_and_saveexec_b64 s[78:79], s[26:27]
	s_cbranch_execz .LBB4_1101
; %bb.1098:                             ;   in Loop: Header=BB4_1016 Depth=2
	v_add_u32_e32 v35, v35, v34
	v_ashrrev_i32_e32 v40, 31, v35
	s_mov_b64 s[88:89], 0
.LBB4_1099:                             ;   Parent Loop BB4_47 Depth=1
                                        ;     Parent Loop BB4_1016 Depth=2
                                        ; =>    This Inner Loop Header: Depth=3
	v_add_co_u32_e64 v4, s[26:27], v38, v35
	v_addc_co_u32_e64 v5, s[26:27], v39, v40, s[26:27]
	global_load_dwordx4 v[4:7], v[4:5], off glc slc
	v_add_co_u32_e64 v16, s[26:27], v48, v35
	v_addc_co_u32_e64 v17, s[26:27], v49, v40, s[26:27]
	v_add_co_u32_e64 v35, s[26:27], v35, v14
	v_sub_u32_e32 v0, v0, v14
	v_addc_co_u32_e64 v40, s[26:27], 0, v40, s[26:27]
	v_cmp_gt_i32_e64 s[26:27], 16, v0
	v_sub_u32_e32 v52, v52, v61
	s_or_b64 s[88:89], s[26:27], s[88:89]
	s_waitcnt vmcnt(0)
	global_store_dwordx4 v[16:17], v[4:7], off glc slc
	s_andn2_b64 exec, exec, s[88:89]
	s_cbranch_execnz .LBB4_1099
; %bb.1100:                             ;   in Loop: Header=BB4_1016 Depth=2
	s_or_b64 exec, exec, s[88:89]
.LBB4_1101:                             ;   in Loop: Header=BB4_1016 Depth=2
	s_or_b64 exec, exec, s[78:79]
	v_and_b32_e32 v41, 12, v55
	v_cndmask_b32_e32 v55, v53, v41, vcc
	v_mov_b32_e32 v0, 0
	v_cmp_ne_u32_e64 s[26:27], 0, v55
	s_mov_b64 s[88:89], 0
                                        ; implicit-def: $vgpr40
                                        ; implicit-def: $vgpr35
	s_and_saveexec_b64 s[78:79], s[26:27]
	s_cbranch_execz .LBB4_1103
; %bb.1102:                             ;   in Loop: Header=BB4_1016 Depth=2
	v_sub_u32_e32 v0, v53, v41
	v_cndmask_b32_e32 v0, 0, v0, vcc
	v_cmp_lt_i32_e32 vcc, 0, v52
	v_cndmask_b32_e32 v4, 0, v61, vcc
	v_sub_u32_e32 v4, v4, v52
	v_lshl_add_u32 v40, v4, 6, v50
	v_ashrrev_i32_e32 v4, 31, v40
	v_lshrrev_b32_e32 v4, 26, v4
	v_add_u32_e32 v4, v40, v4
	v_add3_u32 v0, v51, v34, v0
	v_ashrrev_i32_e32 v35, 6, v4
	s_mov_b64 s[88:89], exec
.LBB4_1103:                             ;   in Loop: Header=BB4_1016 Depth=2
	s_or_b64 exec, exec, s[78:79]
	buffer_load_dword v50, off, s[0:3], s33 offset:148 ; 4-byte Folded Reload
	buffer_load_dword v51, off, s[0:3], s33 offset:152 ; 4-byte Folded Reload
	s_and_b64 s[78:79], s[88:89], exec
.LBB4_1104:                             ;   in Loop: Header=BB4_1016 Depth=2
	s_or_b64 exec, exec, s[76:77]
	s_and_saveexec_b64 s[26:27], s[78:79]
	s_cbranch_execz .LBB4_1113
.LBB4_1105:                             ;   in Loop: Header=BB4_1016 Depth=2
	v_ashrrev_i32_e32 v4, 31, v55
	v_lshrrev_b32_e32 v4, 22, v4
	v_add_u32_e32 v4, v55, v4
	s_waitcnt vmcnt(0)
	v_ashrrev_i32_e32 v42, 10, v4
	v_sub_u32_e32 v34, v42, v35
	v_ashrrev_i32_e32 v4, 31, v40
	v_cmp_lt_i32_e32 vcc, 0, v34
	v_lshrrev_b32_e32 v41, 26, v4
	s_and_saveexec_b64 s[76:77], vcc
	s_cbranch_execz .LBB4_1109
; %bb.1106:                             ;   in Loop: Header=BB4_1016 Depth=2
	v_add_u32_e32 v4, v40, v41
	v_and_b32_e32 v4, 0x3fffffc0, v4
	v_sub_u32_e32 v4, v40, v4
	v_lshlrev_b32_e32 v4, 2, v4
	v_lshlrev_b32_e32 v5, 10, v35
	v_add3_u32 v35, v4, v0, v5
	v_mov_b32_e32 v51, v49
	v_mov_b32_e32 v53, v39
	v_ashrrev_i32_e32 v43, 31, v35
	s_mov_b64 s[78:79], 0
	v_mov_b32_e32 v50, v48
	v_mov_b32_e32 v52, v38
.LBB4_1107:                             ;   Parent Loop BB4_47 Depth=1
                                        ;     Parent Loop BB4_1016 Depth=2
                                        ; =>    This Inner Loop Header: Depth=3
	v_add_co_u32_e32 v4, vcc, v35, v52
	v_addc_co_u32_e32 v5, vcc, v43, v53, vcc
	flat_load_dword v6, v[4:5] glc slc
	flat_load_dword v7, v[4:5] offset:256 glc slc
	flat_load_dword v16, v[4:5] offset:512 glc slc
	;; [unrolled: 1-line block ×3, first 2 shown]
	v_add_co_u32_e32 v4, vcc, v35, v50
	v_addc_co_u32_e32 v5, vcc, v43, v51, vcc
	v_add_co_u32_e32 v52, vcc, v52, v14
	v_addc_co_u32_e32 v53, vcc, 0, v53, vcc
	v_add_co_u32_e32 v50, vcc, v50, v14
	v_sub_u32_e32 v34, v34, v61
	v_addc_co_u32_e32 v51, vcc, 0, v51, vcc
	v_cmp_gt_i32_e32 vcc, 1, v34
	s_or_b64 s[78:79], vcc, s[78:79]
	s_waitcnt vmcnt(0) lgkmcnt(0)
	flat_store_dword v[4:5], v6 glc slc
	flat_store_dword v[4:5], v7 offset:256 glc slc
	flat_store_dword v[4:5], v16 offset:512 glc slc
	;; [unrolled: 1-line block ×3, first 2 shown]
	s_andn2_b64 exec, exec, s[78:79]
	s_cbranch_execnz .LBB4_1107
; %bb.1108:                             ;   in Loop: Header=BB4_1016 Depth=2
	s_or_b64 exec, exec, s[78:79]
	buffer_load_dword v50, off, s[0:3], s33 offset:148 ; 4-byte Folded Reload
	buffer_load_dword v51, off, s[0:3], s33 offset:152 ; 4-byte Folded Reload
.LBB4_1109:                             ;   in Loop: Header=BB4_1016 Depth=2
	s_or_b64 exec, exec, s[76:77]
	v_lshlrev_b32_e32 v35, 10, v42
	buffer_load_dword v42, off, s[0:3], s33 offset:60 ; 4-byte Folded Reload
	buffer_load_dword v43, off, s[0:3], s33 offset:64 ; 4-byte Folded Reload
	buffer_load_dword v44, off, s[0:3], s33 offset:68 ; 4-byte Folded Reload
	buffer_load_dword v45, off, s[0:3], s33 offset:72 ; 4-byte Folded Reload
	v_cmp_ne_u32_e32 vcc, v55, v35
	s_and_b64 s[76:77], exec, vcc
	s_mov_b64 exec, s[76:77]
	s_cbranch_execz .LBB4_1113
; %bb.1110:                             ;   in Loop: Header=BB4_1016 Depth=2
	v_add_u32_e32 v4, v40, v41
	v_and_b32_e32 v4, 0xffffffc0, v4
	v_sub_u32_e32 v4, v40, v4
	v_lshlrev_b32_e32 v5, 6, v34
	v_sub_u32_e32 v4, v4, v5
	v_ashrrev_i32_e32 v5, 31, v4
	v_lshrrev_b32_e32 v5, 26, v5
	v_add_u32_e32 v5, v4, v5
	v_and_b32_e32 v6, 0x3fffffc0, v5
	v_sub_u32_e32 v4, v4, v6
	v_lshlrev_b32_e32 v5, 2, v5
	v_and_b32_e32 v5, 0xffffff00, v5
	v_lshlrev_b32_e32 v4, 2, v4
	v_add3_u32 v35, v5, v4, v35
	v_sub_u32_e32 v34, v55, v35
	v_cmp_lt_i32_e32 vcc, 3, v34
	s_and_b64 exec, exec, vcc
	s_cbranch_execz .LBB4_1113
; %bb.1111:                             ;   in Loop: Header=BB4_1016 Depth=2
	v_add_u32_e32 v0, v35, v0
	v_ashrrev_i32_e32 v35, 31, v0
	s_mov_b64 s[76:77], 0
.LBB4_1112:                             ;   Parent Loop BB4_47 Depth=1
                                        ;     Parent Loop BB4_1016 Depth=2
                                        ; =>    This Inner Loop Header: Depth=3
	v_add_co_u32_e32 v4, vcc, v38, v0
	v_addc_co_u32_e32 v5, vcc, v39, v35, vcc
	flat_load_dword v6, v[4:5] glc slc
	v_add_co_u32_e32 v4, vcc, v48, v0
	v_addc_co_u32_e32 v5, vcc, v49, v35, vcc
	v_add_co_u32_e32 v0, vcc, v0, v15
	v_sub_u32_e32 v34, v34, v15
	v_addc_co_u32_e32 v35, vcc, 0, v35, vcc
	v_cmp_gt_i32_e32 vcc, 4, v34
	s_or_b64 s[76:77], vcc, s[76:77]
	s_waitcnt vmcnt(0) lgkmcnt(0)
	flat_store_dword v[4:5], v6 glc slc
	s_andn2_b64 exec, exec, s[76:77]
	s_cbranch_execnz .LBB4_1112
.LBB4_1113:                             ;   in Loop: Header=BB4_1016 Depth=2
	s_or_b64 exec, exec, s[26:27]
	v_cmp_lt_i32_e64 s[26:27], 0, v9
	v_ashrrev_i32_e32 v49, 31, v1
	s_and_saveexec_b64 s[76:77], s[10:11]
	s_cbranch_execz .LBB4_1087
.LBB4_1114:                             ;   in Loop: Header=BB4_1016 Depth=2
	s_and_saveexec_b64 s[78:79], s[56:57]
	s_xor_b64 s[78:79], exec, s[78:79]
	s_cbranch_execz .LBB4_1129
; %bb.1115:                             ;   in Loop: Header=BB4_1016 Depth=2
	s_and_saveexec_b64 s[88:89], s[16:17]
	s_cbranch_execz .LBB4_1128
; %bb.1116:                             ;   in Loop: Header=BB4_1016 Depth=2
	s_mov_b64 s[92:93], exec
	v_mbcnt_lo_u32_b32 v0, s92, 0
	v_mbcnt_hi_u32_b32 v0, s93, v0
	v_cmp_eq_u32_e32 vcc, 0, v0
	s_waitcnt vmcnt(0) lgkmcnt(0)
	buffer_wbinvl1_vol
	s_and_saveexec_b64 s[90:91], vcc
	s_cbranch_execz .LBB4_1118
; %bb.1117:                             ;   in Loop: Header=BB4_1016 Depth=2
	s_bcnt1_i32_b64 s92, s[92:93]
	v_mov_b32_e32 v4, s92
	v_mov_b32_e32 v5, v2
	ds_add_u64 v0, v[4:5]
	s_trap 2
.LBB4_1118:                             ;   in Loop: Header=BB4_1016 Depth=2
	s_or_b64 exec, exec, s[90:91]
	s_trap 2
	ds_read_b64 v[4:5], v0
	s_waitcnt lgkmcnt(0)
	v_add_co_u32_e32 v12, vcc, v12, v61
	v_addc_co_u32_e32 v13, vcc, 0, v13, vcc
	v_cmp_lt_u64_e32 vcc, v[4:5], v[12:13]
	s_and_saveexec_b64 s[90:91], vcc
	s_cbranch_execz .LBB4_1127
; %bb.1119:                             ;   in Loop: Header=BB4_1016 Depth=2
	s_mov_b32 s38, 0
	s_mov_b64 s[92:93], 0
                                        ; implicit-def: $sgpr94_sgpr95
                                        ; implicit-def: $sgpr30_sgpr31
	s_branch .LBB4_1121
.LBB4_1120:                             ;   in Loop: Header=BB4_1121 Depth=3
	s_or_b64 exec, exec, s[36:37]
	s_and_b64 vcc, exec, vcc
	s_or_b64 s[92:93], vcc, s[92:93]
	s_andn2_b64 s[94:95], s[94:95], exec
	s_and_b64 vcc, s[30:31], exec
	s_or_b64 s[94:95], s[94:95], vcc
	s_andn2_b64 exec, exec, s[92:93]
	s_cbranch_execz .LBB4_1125
.LBB4_1121:                             ;   Parent Loop BB4_47 Depth=1
                                        ;     Parent Loop BB4_1016 Depth=2
                                        ; =>    This Inner Loop Header: Depth=3
	s_add_i32 s38, s38, 1
	s_cmpk_lg_i32 s38, 0x2710
	s_cselect_b64 s[34:35], -1, 0
	s_and_b64 vcc, exec, s[34:35]
	s_cbranch_vccz .LBB4_1123
; %bb.1122:                             ;   in Loop: Header=BB4_1121 Depth=3
	s_mov_b64 vcc, -1
	s_or_b64 s[30:31], s[30:31], exec
	s_and_saveexec_b64 s[36:37], s[34:35]
	s_cbranch_execz .LBB4_1120
	s_branch .LBB4_1124
.LBB4_1123:                             ;   in Loop: Header=BB4_1121 Depth=3
	s_trap 2
	ds_read_b64 v[4:5], v0
	s_andn2_b64 s[34:35], s[34:35], exec
	s_mov_b32 s38, 0
	s_waitcnt lgkmcnt(0)
	flat_load_dword v0, v[4:5] glc
	s_waitcnt vmcnt(0) lgkmcnt(0)
	buffer_wbinvl1_vol
	v_cmp_eq_u32_e32 vcc, 0, v0
	s_and_b64 vcc, vcc, exec
	s_or_b64 s[34:35], s[34:35], vcc
	s_mov_b64 vcc, -1
	s_or_b64 s[30:31], s[30:31], exec
	s_and_saveexec_b64 s[36:37], s[34:35]
	s_cbranch_execz .LBB4_1120
.LBB4_1124:                             ;   in Loop: Header=BB4_1121 Depth=3
	s_sleep 1
	s_trap 2
	ds_read_b64 v[4:5], v0
	s_waitcnt lgkmcnt(0)
	s_andn2_b64 s[30:31], s[30:31], exec
	v_cmp_ge_u64_e32 vcc, v[4:5], v[12:13]
	s_orn2_b64 vcc, vcc, exec
	s_branch .LBB4_1120
.LBB4_1125:                             ;   in Loop: Header=BB4_1016 Depth=2
	s_or_b64 exec, exec, s[92:93]
	s_and_saveexec_b64 s[92:93], s[94:95]
	s_xor_b64 s[92:93], exec, s[92:93]
	s_cbranch_execz .LBB4_1127
; %bb.1126:                             ;   in Loop: Header=BB4_1016 Depth=2
	ds_write_b32 v0, v24
	s_trap 2
.LBB4_1127:                             ;   in Loop: Header=BB4_1016 Depth=2
	s_or_b64 exec, exec, s[90:91]
	;;#ASMSTART
	s_wakeup
	;;#ASMEND
.LBB4_1128:                             ;   in Loop: Header=BB4_1016 Depth=2
	s_or_b64 exec, exec, s[88:89]
.LBB4_1129:                             ;   in Loop: Header=BB4_1016 Depth=2
	s_andn2_saveexec_b64 s[78:79], s[78:79]
	s_cbranch_execz .LBB4_1131
; %bb.1130:                             ;   in Loop: Header=BB4_1016 Depth=2
	s_waitcnt vmcnt(0) lgkmcnt(0)
	buffer_wbinvl1_vol
	s_barrier
.LBB4_1131:                             ;   in Loop: Header=BB4_1016 Depth=2
	s_or_b64 exec, exec, s[78:79]
	s_or_b64 exec, exec, s[76:77]
	s_and_saveexec_b64 s[76:77], s[24:25]
	s_xor_b64 s[76:77], exec, s[76:77]
	s_cbranch_execnz .LBB4_1088
.LBB4_1132:                             ;   in Loop: Header=BB4_1016 Depth=2
	s_andn2_saveexec_b64 s[26:27], s[76:77]
	s_cbranch_execz .LBB4_1151
.LBB4_1133:                             ;   in Loop: Header=BB4_1016 Depth=2
	s_and_saveexec_b64 s[76:77], s[56:57]
	s_xor_b64 s[76:77], exec, s[76:77]
	s_cbranch_execz .LBB4_1148
; %bb.1134:                             ;   in Loop: Header=BB4_1016 Depth=2
	s_and_saveexec_b64 s[78:79], s[16:17]
	s_cbranch_execz .LBB4_1147
; %bb.1135:                             ;   in Loop: Header=BB4_1016 Depth=2
	s_mov_b64 s[90:91], exec
	v_mbcnt_lo_u32_b32 v0, s90, 0
	v_mbcnt_hi_u32_b32 v0, s91, v0
	v_cmp_eq_u32_e32 vcc, 0, v0
	;;#ASMSTART
	s_waitcnt lgkmcnt(0) vmcnt(0)
	;;#ASMEND
	s_and_saveexec_b64 s[88:89], vcc
	s_cbranch_execz .LBB4_1137
; %bb.1136:                             ;   in Loop: Header=BB4_1016 Depth=2
	s_bcnt1_i32_b64 s90, s[90:91]
	v_mov_b32_e32 v4, s90
	v_mov_b32_e32 v5, v2
	s_waitcnt lgkmcnt(0)
	ds_add_u64 v0, v[4:5]
	s_trap 2
.LBB4_1137:                             ;   in Loop: Header=BB4_1016 Depth=2
	s_or_b64 exec, exec, s[88:89]
	s_trap 2
	ds_read_b64 v[4:5], v0
	s_waitcnt lgkmcnt(0)
	v_add_co_u32_e32 v12, vcc, v12, v61
	v_addc_co_u32_e32 v13, vcc, 0, v13, vcc
	v_cmp_lt_u64_e32 vcc, v[4:5], v[12:13]
	s_and_saveexec_b64 s[88:89], vcc
	s_cbranch_execz .LBB4_1146
; %bb.1138:                             ;   in Loop: Header=BB4_1016 Depth=2
	s_mov_b32 s36, 0
	s_mov_b64 s[90:91], 0
                                        ; implicit-def: $sgpr92_sgpr93
                                        ; implicit-def: $sgpr94_sgpr95
	s_branch .LBB4_1140
.LBB4_1139:                             ;   in Loop: Header=BB4_1140 Depth=3
	s_or_b64 exec, exec, s[34:35]
	s_and_b64 vcc, exec, vcc
	s_or_b64 s[90:91], vcc, s[90:91]
	s_andn2_b64 s[92:93], s[92:93], exec
	s_and_b64 vcc, s[94:95], exec
	s_or_b64 s[92:93], s[92:93], vcc
	s_andn2_b64 exec, exec, s[90:91]
	s_cbranch_execz .LBB4_1144
.LBB4_1140:                             ;   Parent Loop BB4_47 Depth=1
                                        ;     Parent Loop BB4_1016 Depth=2
                                        ; =>    This Inner Loop Header: Depth=3
	s_add_i32 s36, s36, 1
	s_cmpk_lg_i32 s36, 0x2710
	s_cselect_b64 s[30:31], -1, 0
	s_and_b64 vcc, exec, s[30:31]
	s_cbranch_vccz .LBB4_1142
; %bb.1141:                             ;   in Loop: Header=BB4_1140 Depth=3
	s_mov_b64 vcc, -1
	s_or_b64 s[94:95], s[94:95], exec
	s_and_saveexec_b64 s[34:35], s[30:31]
	s_cbranch_execz .LBB4_1139
	s_branch .LBB4_1143
.LBB4_1142:                             ;   in Loop: Header=BB4_1140 Depth=3
	s_trap 2
	ds_read_b64 v[4:5], v0
	s_andn2_b64 s[30:31], s[30:31], exec
	s_mov_b32 s36, 0
	s_waitcnt vmcnt(0) lgkmcnt(0)
	flat_load_dword v0, v[4:5] glc
	s_waitcnt vmcnt(0) lgkmcnt(0)
	buffer_wbinvl1_vol
	v_cmp_eq_u32_e32 vcc, 0, v0
	s_and_b64 vcc, vcc, exec
	s_or_b64 s[30:31], s[30:31], vcc
	s_mov_b64 vcc, -1
	s_or_b64 s[94:95], s[94:95], exec
	s_and_saveexec_b64 s[34:35], s[30:31]
	s_cbranch_execz .LBB4_1139
.LBB4_1143:                             ;   in Loop: Header=BB4_1140 Depth=3
	s_sleep 1
	s_trap 2
	ds_read_b64 v[4:5], v0
	s_waitcnt lgkmcnt(0)
	s_andn2_b64 s[94:95], s[94:95], exec
	v_cmp_ge_u64_e32 vcc, v[4:5], v[12:13]
	s_orn2_b64 vcc, vcc, exec
	s_branch .LBB4_1139
.LBB4_1144:                             ;   in Loop: Header=BB4_1016 Depth=2
	s_or_b64 exec, exec, s[90:91]
	s_and_saveexec_b64 s[90:91], s[92:93]
	s_xor_b64 s[90:91], exec, s[90:91]
	s_cbranch_execz .LBB4_1146
; %bb.1145:                             ;   in Loop: Header=BB4_1016 Depth=2
	ds_write_b32 v0, v24
	s_trap 2
.LBB4_1146:                             ;   in Loop: Header=BB4_1016 Depth=2
	s_or_b64 exec, exec, s[88:89]
	;;#ASMSTART
	s_wakeup
	;;#ASMEND
.LBB4_1147:                             ;   in Loop: Header=BB4_1016 Depth=2
	s_or_b64 exec, exec, s[78:79]
.LBB4_1148:                             ;   in Loop: Header=BB4_1016 Depth=2
	s_andn2_saveexec_b64 s[76:77], s[76:77]
	s_cbranch_execz .LBB4_1150
; %bb.1149:                             ;   in Loop: Header=BB4_1016 Depth=2
	;;#ASMSTART
	s_waitcnt lgkmcnt(0) vmcnt(0)
	;;#ASMEND
	s_waitcnt vmcnt(0) lgkmcnt(0)
	s_barrier
.LBB4_1150:                             ;   in Loop: Header=BB4_1016 Depth=2
	s_or_b64 exec, exec, s[76:77]
.LBB4_1151:                             ;   in Loop: Header=BB4_1016 Depth=2
	s_or_b64 exec, exec, s[26:27]
	v_and_b32_e32 v0, 32, v59
	v_cmp_ne_u32_e32 vcc, 0, v0
	s_and_saveexec_b64 s[26:27], vcc
	s_cbranch_execz .LBB4_1015
; %bb.1152:                             ;   in Loop: Header=BB4_1016 Depth=2
	v_add_co_u32_e32 v36, vcc, 2, v36
	v_addc_co_u32_e32 v37, vcc, 0, v37, vcc
	flat_store_dwordx2 v[20:21], v[36:37]
	s_branch .LBB4_1015
.LBB4_1153:                             ;   in Loop: Header=BB4_47 Depth=1
	s_or_b64 exec, exec, s[40:41]
.LBB4_1154:                             ;   in Loop: Header=BB4_47 Depth=1
	s_or_b64 exec, exec, s[28:29]
	v_cmp_gt_i32_e32 vcc, 2, v0
	s_and_saveexec_b64 s[28:29], vcc
	s_cbranch_execz .LBB4_46
; %bb.1155:                             ;   in Loop: Header=BB4_47 Depth=1
	v_cmp_eq_u32_e64 s[42:43], 0, v0
	s_mov_b64 s[40:41], 0
	s_branch .LBB4_1157
.LBB4_1156:                             ;   in Loop: Header=BB4_1157 Depth=2
	s_or_b64 exec, exec, s[26:27]
	v_add_u32_e32 v8, v54, v8
	s_mov_b64 s[42:43], 0
	s_andn2_b64 exec, exec, s[40:41]
	s_cbranch_execz .LBB4_45
.LBB4_1157:                             ;   Parent Loop BB4_47 Depth=1
                                        ; =>  This Loop Header: Depth=2
                                        ;       Child Loop BB4_1163 Depth 3
                                        ;       Child Loop BB4_1187 Depth 3
                                        ;       Child Loop BB4_1210 Depth 3
	v_and_b32_e32 v0, 4, v59
	v_cmp_ne_u32_e32 vcc, 0, v0
	s_and_saveexec_b64 s[76:77], vcc
	s_cbranch_execz .LBB4_1179
; %bb.1158:                             ;   in Loop: Header=BB4_1157 Depth=2
	v_add_co_u32_e32 v9, vcc, 2, v36
	v_addc_co_u32_e32 v10, vcc, 0, v37, vcc
	s_waitcnt vmcnt(0) lgkmcnt(0)
	v_cmp_lt_u64_e32 vcc, v[26:27], v[9:10]
	s_and_saveexec_b64 s[78:79], vcc
	s_cbranch_execz .LBB4_1170
; %bb.1159:                             ;   in Loop: Header=BB4_1157 Depth=2
	v_and_b32_e32 v0, 64, v59
	s_mov_b32 s75, 0
	v_cmp_eq_u32_e32 vcc, 0, v0
	s_mov_b64 s[88:89], 0
                                        ; implicit-def: $sgpr90_sgpr91
                                        ; implicit-def: $sgpr92_sgpr93
                                        ; implicit-def: $sgpr94_sgpr95
	s_branch .LBB4_1163
.LBB4_1160:                             ;   in Loop: Header=BB4_1163 Depth=3
	s_waitcnt vmcnt(0) lgkmcnt(0)
	v_cmp_ge_u64_e64 s[26:27], v[26:27], v[9:10]
	s_or_b64 s[36:37], s[36:37], exec
	s_orn2_b64 s[34:35], s[26:27], exec
.LBB4_1161:                             ;   in Loop: Header=BB4_1163 Depth=3
	s_or_b64 exec, exec, s[48:49]
	s_andn2_b64 s[26:27], s[94:95], exec
	s_and_b64 s[94:95], s[36:37], exec
	s_or_b64 s[94:95], s[26:27], s[94:95]
	s_andn2_b64 s[26:27], s[92:93], exec
	s_and_b64 s[92:93], s[34:35], exec
	s_or_b64 s[92:93], s[26:27], s[92:93]
.LBB4_1162:                             ;   in Loop: Header=BB4_1163 Depth=3
	s_or_b64 exec, exec, s[30:31]
	s_and_b64 s[26:27], exec, s[92:93]
	s_or_b64 s[88:89], s[26:27], s[88:89]
	s_andn2_b64 s[26:27], s[90:91], exec
	s_and_b64 s[90:91], s[94:95], exec
	s_or_b64 s[90:91], s[26:27], s[90:91]
	s_andn2_b64 exec, exec, s[88:89]
	s_cbranch_execz .LBB4_1167
.LBB4_1163:                             ;   Parent Loop BB4_47 Depth=1
                                        ;     Parent Loop BB4_1157 Depth=2
                                        ; =>    This Inner Loop Header: Depth=3
	s_sleep 1
	s_waitcnt vmcnt(0) lgkmcnt(0)
	flat_load_dwordx2 v[26:27], v[20:21] glc
	s_or_b64 s[94:95], s[94:95], exec
	s_or_b64 s[92:93], s[92:93], exec
                                        ; implicit-def: $vgpr0
	s_and_saveexec_b64 s[30:31], vcc
	s_cbranch_execz .LBB4_1162
; %bb.1164:                             ;   in Loop: Header=BB4_1163 Depth=3
	s_cmpk_lt_i32 s75, 0x270f
	s_cselect_b64 s[38:39], -1, 0
	s_cmpk_gt_i32 s75, 0x270e
	s_mov_b64 s[34:35], -1
	s_cbranch_scc0 .LBB4_1166
; %bb.1165:                             ;   in Loop: Header=BB4_1163 Depth=3
	s_trap 2
	ds_read_b64 v[4:5], v0
	s_andn2_b64 s[38:39], s[38:39], exec
	s_mov_b32 s75, 0
	s_mov_b64 s[36:37], 0
	s_waitcnt vmcnt(0) lgkmcnt(0)
	flat_load_dword v0, v[4:5] glc
	s_waitcnt vmcnt(0) lgkmcnt(0)
	buffer_wbinvl1_vol
	v_cmp_eq_u32_e64 s[26:27], 0, v0
	s_and_b64 s[26:27], s[26:27], exec
	s_or_b64 s[38:39], s[38:39], s[26:27]
	s_and_saveexec_b64 s[48:49], s[38:39]
	s_cbranch_execz .LBB4_1161
	s_branch .LBB4_1160
.LBB4_1166:                             ;   in Loop: Header=BB4_1163 Depth=3
	s_add_i32 s75, s75, 1
	s_mov_b64 s[36:37], -1
                                        ; implicit-def: $vgpr0
	s_and_saveexec_b64 s[48:49], s[38:39]
	s_cbranch_execz .LBB4_1161
	s_branch .LBB4_1160
.LBB4_1167:                             ;   in Loop: Header=BB4_1157 Depth=2
	s_or_b64 exec, exec, s[88:89]
	s_xor_b64 s[26:27], s[90:91], -1
	s_and_saveexec_b64 s[88:89], s[26:27]
	s_xor_b64 s[26:27], exec, s[88:89]
	s_cbranch_execz .LBB4_1169
; %bb.1168:                             ;   in Loop: Header=BB4_1157 Depth=2
	v_or_b32_e32 v59, 64, v59
	s_waitcnt lgkmcnt(0)
	ds_write_b32 v0, v0
	s_trap 2
.LBB4_1169:                             ;   in Loop: Header=BB4_1157 Depth=2
	s_or_b64 exec, exec, s[26:27]
.LBB4_1170:                             ;   in Loop: Header=BB4_1157 Depth=2
	s_or_b64 exec, exec, s[78:79]
	v_and_b32_e32 v0, 0x100, v59
	v_cmp_ne_u32_e32 vcc, 0, v0
	v_and_b32_e32 v0, 7, v36
	s_mov_b64 s[26:27], -1
	;;#ASMSTART
	s_wakeup
	;;#ASMEND
                                        ; implicit-def: $vgpr36_vgpr37
	s_and_saveexec_b64 s[78:79], vcc
	s_cbranch_execz .LBB4_1174
; %bb.1171:                             ;   in Loop: Header=BB4_1157 Depth=2
	v_mad_u64_u32 v[38:39], s[26:27], v0, 24, v[42:43]
                                        ; implicit-def: $vgpr36_vgpr37
	flat_load_dword v4, v[38:39]
	s_waitcnt vmcnt(0) lgkmcnt(0)
	v_cmp_ne_u32_e32 vcc, 1, v4
	v_cmp_eq_u32_e64 s[26:27], 1, v4
	s_and_saveexec_b64 s[88:89], s[26:27]
	s_cbranch_execz .LBB4_1173
; %bb.1172:                             ;   in Loop: Header=BB4_1157 Depth=2
	flat_load_dword v4, v[38:39] offset:4 glc
	s_waitcnt vmcnt(0) lgkmcnt(0)
	v_ashrrev_i32_e32 v5, 31, v4
	v_lshrrev_b64 v[36:37], 2, v[4:5]
.LBB4_1173:                             ;   in Loop: Header=BB4_1157 Depth=2
	s_or_b64 exec, exec, s[88:89]
	s_orn2_b64 s[26:27], vcc, exec
.LBB4_1174:                             ;   in Loop: Header=BB4_1157 Depth=2
	s_or_b64 exec, exec, s[78:79]
	s_and_saveexec_b64 s[78:79], s[26:27]
; %bb.1175:                             ;   in Loop: Header=BB4_1157 Depth=2
	v_mad_i64_i32 v[36:37], s[26:27], v0, v60, 0
; %bb.1176:                             ;   in Loop: Header=BB4_1157 Depth=2
	s_or_b64 exec, exec, s[78:79]
	v_lshlrev_b64 v[4:5], 2, v[36:37]
	v_add_co_u32_e32 v4, vcc, v29, v4
	v_addc_co_u32_e32 v5, vcc, v30, v5, vcc
	ds_write_b64 v0, v[4:5] offset:720
	v_and_b32_e32 v0, 0x2000, v59
	v_cmp_ne_u32_e32 vcc, 0, v0
	s_and_saveexec_b64 s[26:27], vcc
	s_cbranch_execz .LBB4_1178
; %bb.1177:                             ;   in Loop: Header=BB4_1157 Depth=2
	ds_read_b64 v[4:5], v0 offset:872
	s_waitcnt lgkmcnt(0)
	v_add_co_u32_e32 v4, vcc, 1, v4
	v_addc_co_u32_e32 v5, vcc, 0, v5, vcc
	ds_write_b64 v0, v[4:5] offset:872
.LBB4_1178:                             ;   in Loop: Header=BB4_1157 Depth=2
	s_or_b64 exec, exec, s[26:27]
	v_mov_b32_e32 v37, v10
	v_mov_b32_e32 v36, v9
.LBB4_1179:                             ;   in Loop: Header=BB4_1157 Depth=2
	s_or_b64 exec, exec, s[76:77]
	s_xor_b64 s[26:27], s[42:43], -1
	s_and_b64 s[26:27], exec, s[26:27]
	s_or_b64 s[40:41], s[26:27], s[40:41]
	s_and_saveexec_b64 s[26:27], s[10:11]
	s_cbranch_execz .LBB4_1198
; %bb.1180:                             ;   in Loop: Header=BB4_1157 Depth=2
	s_and_saveexec_b64 s[42:43], s[56:57]
	s_xor_b64 s[42:43], exec, s[42:43]
	s_cbranch_execz .LBB4_1195
; %bb.1181:                             ;   in Loop: Header=BB4_1157 Depth=2
	s_and_saveexec_b64 s[76:77], s[16:17]
	s_cbranch_execz .LBB4_1194
; %bb.1182:                             ;   in Loop: Header=BB4_1157 Depth=2
	s_mov_b64 s[88:89], exec
	v_mbcnt_lo_u32_b32 v0, s88, 0
	v_mbcnt_hi_u32_b32 v0, s89, v0
	v_cmp_eq_u32_e32 vcc, 0, v0
	s_waitcnt vmcnt(0) lgkmcnt(0)
	buffer_wbinvl1_vol
	s_and_saveexec_b64 s[78:79], vcc
	s_cbranch_execz .LBB4_1184
; %bb.1183:                             ;   in Loop: Header=BB4_1157 Depth=2
	s_bcnt1_i32_b64 s75, s[88:89]
	v_mov_b32_e32 v4, s75
	v_mov_b32_e32 v5, v2
	ds_add_u64 v0, v[4:5]
	s_trap 2
.LBB4_1184:                             ;   in Loop: Header=BB4_1157 Depth=2
	s_or_b64 exec, exec, s[78:79]
	s_trap 2
	ds_read_b64 v[4:5], v0
	s_waitcnt lgkmcnt(0)
	v_add_co_u32_e32 v12, vcc, v12, v61
	v_addc_co_u32_e32 v13, vcc, 0, v13, vcc
	v_cmp_lt_u64_e32 vcc, v[4:5], v[12:13]
	s_and_saveexec_b64 s[78:79], vcc
	s_cbranch_execz .LBB4_1193
; %bb.1185:                             ;   in Loop: Header=BB4_1157 Depth=2
	s_mov_b32 s75, 0
	s_mov_b64 s[88:89], 0
                                        ; implicit-def: $sgpr90_sgpr91
                                        ; implicit-def: $sgpr92_sgpr93
	s_branch .LBB4_1187
.LBB4_1186:                             ;   in Loop: Header=BB4_1187 Depth=3
	s_or_b64 exec, exec, s[30:31]
	s_and_b64 s[94:95], exec, vcc
	s_or_b64 s[88:89], s[94:95], s[88:89]
	s_andn2_b64 s[90:91], s[90:91], exec
	s_and_b64 s[94:95], s[92:93], exec
	s_or_b64 s[90:91], s[90:91], s[94:95]
	s_andn2_b64 exec, exec, s[88:89]
	s_cbranch_execz .LBB4_1191
.LBB4_1187:                             ;   Parent Loop BB4_47 Depth=1
                                        ;     Parent Loop BB4_1157 Depth=2
                                        ; =>    This Inner Loop Header: Depth=3
	s_add_i32 s75, s75, 1
	s_cmpk_lg_i32 s75, 0x2710
	s_cselect_b64 s[94:95], -1, 0
	s_and_b64 vcc, exec, s[94:95]
	s_cbranch_vccz .LBB4_1189
; %bb.1188:                             ;   in Loop: Header=BB4_1187 Depth=3
	s_mov_b64 vcc, -1
	s_or_b64 s[92:93], s[92:93], exec
	s_and_saveexec_b64 s[30:31], s[94:95]
	s_cbranch_execz .LBB4_1186
	s_branch .LBB4_1190
.LBB4_1189:                             ;   in Loop: Header=BB4_1187 Depth=3
	s_trap 2
	ds_read_b64 v[4:5], v0
	s_andn2_b64 s[94:95], s[94:95], exec
	s_mov_b32 s75, 0
	s_waitcnt lgkmcnt(0)
	flat_load_dword v0, v[4:5] glc
	s_waitcnt vmcnt(0) lgkmcnt(0)
	buffer_wbinvl1_vol
	v_cmp_eq_u32_e32 vcc, 0, v0
	s_and_b64 vcc, vcc, exec
	s_or_b64 s[94:95], s[94:95], vcc
	s_mov_b64 vcc, -1
	s_or_b64 s[92:93], s[92:93], exec
	s_and_saveexec_b64 s[30:31], s[94:95]
	s_cbranch_execz .LBB4_1186
.LBB4_1190:                             ;   in Loop: Header=BB4_1187 Depth=3
	s_sleep 1
	s_trap 2
	ds_read_b64 v[4:5], v0
	s_waitcnt lgkmcnt(0)
	s_andn2_b64 s[92:93], s[92:93], exec
	v_cmp_ge_u64_e32 vcc, v[4:5], v[12:13]
	s_orn2_b64 vcc, vcc, exec
	s_branch .LBB4_1186
.LBB4_1191:                             ;   in Loop: Header=BB4_1157 Depth=2
	s_or_b64 exec, exec, s[88:89]
	s_and_saveexec_b64 s[88:89], s[90:91]
	s_xor_b64 s[88:89], exec, s[88:89]
	s_cbranch_execz .LBB4_1193
; %bb.1192:                             ;   in Loop: Header=BB4_1157 Depth=2
	ds_write_b32 v0, v24
	s_trap 2
.LBB4_1193:                             ;   in Loop: Header=BB4_1157 Depth=2
	s_or_b64 exec, exec, s[78:79]
	;;#ASMSTART
	s_wakeup
	;;#ASMEND
.LBB4_1194:                             ;   in Loop: Header=BB4_1157 Depth=2
	s_or_b64 exec, exec, s[76:77]
.LBB4_1195:                             ;   in Loop: Header=BB4_1157 Depth=2
	s_andn2_saveexec_b64 s[42:43], s[42:43]
	s_cbranch_execz .LBB4_1197
; %bb.1196:                             ;   in Loop: Header=BB4_1157 Depth=2
	s_waitcnt vmcnt(0) lgkmcnt(0)
	buffer_wbinvl1_vol
	s_barrier
.LBB4_1197:                             ;   in Loop: Header=BB4_1157 Depth=2
	s_or_b64 exec, exec, s[42:43]
.LBB4_1198:                             ;   in Loop: Header=BB4_1157 Depth=2
	s_or_b64 exec, exec, s[26:27]
	v_sub_u32_e32 v0, v3, v8
	v_min_i32_e32 v54, v54, v0
	s_and_saveexec_b64 s[26:27], s[24:25]
	s_xor_b64 s[26:27], exec, s[26:27]
	s_cbranch_execz .LBB4_1202
; %bb.1199:                             ;   in Loop: Header=BB4_1157 Depth=2
	s_trap 2
	ds_read_b32 v0, v0
	v_cmp_lt_i32_e32 vcc, 0, v54
	s_waitcnt lgkmcnt(0)
	v_readfirstlane_b32 s42, v0
	s_cmp_eq_u32 s42, 0
	s_cselect_b64 s[42:43], -1, 0
	v_and_b32_e32 v0, 16, v59
	s_and_b64 s[42:43], vcc, s[42:43]
	v_cmp_ne_u32_e32 vcc, 0, v0
	s_and_b64 s[76:77], vcc, s[42:43]
	s_and_saveexec_b64 s[42:43], s[76:77]
	s_cbranch_execz .LBB4_1201
; %bb.1200:                             ;   in Loop: Header=BB4_1157 Depth=2
	s_waitcnt vmcnt(0)
	buffer_wbinvl1_vol
.LBB4_1201:                             ;   in Loop: Header=BB4_1157 Depth=2
	s_or_b64 exec, exec, s[42:43]
.LBB4_1202:                             ;   in Loop: Header=BB4_1157 Depth=2
	s_andn2_saveexec_b64 s[26:27], s[26:27]
	s_cbranch_execz .LBB4_1221
; %bb.1203:                             ;   in Loop: Header=BB4_1157 Depth=2
	s_and_saveexec_b64 s[42:43], s[56:57]
	s_xor_b64 s[42:43], exec, s[42:43]
	s_cbranch_execz .LBB4_1218
; %bb.1204:                             ;   in Loop: Header=BB4_1157 Depth=2
	s_and_saveexec_b64 s[76:77], s[16:17]
	s_cbranch_execz .LBB4_1217
; %bb.1205:                             ;   in Loop: Header=BB4_1157 Depth=2
	s_mov_b64 s[88:89], exec
	v_mbcnt_lo_u32_b32 v0, s88, 0
	v_mbcnt_hi_u32_b32 v0, s89, v0
	v_cmp_eq_u32_e32 vcc, 0, v0
	;;#ASMSTART
	s_waitcnt lgkmcnt(0) vmcnt(0)
	;;#ASMEND
	s_and_saveexec_b64 s[78:79], vcc
	s_cbranch_execz .LBB4_1207
; %bb.1206:                             ;   in Loop: Header=BB4_1157 Depth=2
	s_bcnt1_i32_b64 s75, s[88:89]
	v_mov_b32_e32 v4, s75
	v_mov_b32_e32 v5, v2
	s_waitcnt lgkmcnt(0)
	ds_add_u64 v0, v[4:5]
	s_trap 2
.LBB4_1207:                             ;   in Loop: Header=BB4_1157 Depth=2
	s_or_b64 exec, exec, s[78:79]
	s_trap 2
	ds_read_b64 v[4:5], v0
	s_waitcnt lgkmcnt(0)
	v_add_co_u32_e32 v12, vcc, v12, v61
	v_addc_co_u32_e32 v13, vcc, 0, v13, vcc
	v_cmp_lt_u64_e32 vcc, v[4:5], v[12:13]
	s_and_saveexec_b64 s[78:79], vcc
	s_cbranch_execz .LBB4_1216
; %bb.1208:                             ;   in Loop: Header=BB4_1157 Depth=2
	s_mov_b32 s75, 0
	s_mov_b64 s[88:89], 0
                                        ; implicit-def: $sgpr90_sgpr91
                                        ; implicit-def: $sgpr92_sgpr93
	s_branch .LBB4_1210
.LBB4_1209:                             ;   in Loop: Header=BB4_1210 Depth=3
	s_or_b64 exec, exec, s[30:31]
	s_and_b64 s[94:95], exec, vcc
	s_or_b64 s[88:89], s[94:95], s[88:89]
	s_andn2_b64 s[90:91], s[90:91], exec
	s_and_b64 s[94:95], s[92:93], exec
	s_or_b64 s[90:91], s[90:91], s[94:95]
	s_andn2_b64 exec, exec, s[88:89]
	s_cbranch_execz .LBB4_1214
.LBB4_1210:                             ;   Parent Loop BB4_47 Depth=1
                                        ;     Parent Loop BB4_1157 Depth=2
                                        ; =>    This Inner Loop Header: Depth=3
	s_add_i32 s75, s75, 1
	s_cmpk_lg_i32 s75, 0x2710
	s_cselect_b64 s[94:95], -1, 0
	s_and_b64 vcc, exec, s[94:95]
	s_cbranch_vccz .LBB4_1212
; %bb.1211:                             ;   in Loop: Header=BB4_1210 Depth=3
	s_mov_b64 vcc, -1
	s_or_b64 s[92:93], s[92:93], exec
	s_and_saveexec_b64 s[30:31], s[94:95]
	s_cbranch_execz .LBB4_1209
	s_branch .LBB4_1213
.LBB4_1212:                             ;   in Loop: Header=BB4_1210 Depth=3
	s_trap 2
	ds_read_b64 v[4:5], v0
	s_andn2_b64 s[94:95], s[94:95], exec
	s_mov_b32 s75, 0
	s_waitcnt vmcnt(0) lgkmcnt(0)
	flat_load_dword v0, v[4:5] glc
	s_waitcnt vmcnt(0) lgkmcnt(0)
	buffer_wbinvl1_vol
	v_cmp_eq_u32_e32 vcc, 0, v0
	s_and_b64 vcc, vcc, exec
	s_or_b64 s[94:95], s[94:95], vcc
	s_mov_b64 vcc, -1
	s_or_b64 s[92:93], s[92:93], exec
	s_and_saveexec_b64 s[30:31], s[94:95]
	s_cbranch_execz .LBB4_1209
.LBB4_1213:                             ;   in Loop: Header=BB4_1210 Depth=3
	s_sleep 1
	s_trap 2
	ds_read_b64 v[4:5], v0
	s_waitcnt lgkmcnt(0)
	s_andn2_b64 s[92:93], s[92:93], exec
	v_cmp_ge_u64_e32 vcc, v[4:5], v[12:13]
	s_orn2_b64 vcc, vcc, exec
	s_branch .LBB4_1209
.LBB4_1214:                             ;   in Loop: Header=BB4_1157 Depth=2
	s_or_b64 exec, exec, s[88:89]
	s_and_saveexec_b64 s[88:89], s[90:91]
	s_xor_b64 s[88:89], exec, s[88:89]
	s_cbranch_execz .LBB4_1216
; %bb.1215:                             ;   in Loop: Header=BB4_1157 Depth=2
	ds_write_b32 v0, v24
	s_trap 2
.LBB4_1216:                             ;   in Loop: Header=BB4_1157 Depth=2
	s_or_b64 exec, exec, s[78:79]
	;;#ASMSTART
	s_wakeup
	;;#ASMEND
.LBB4_1217:                             ;   in Loop: Header=BB4_1157 Depth=2
	s_or_b64 exec, exec, s[76:77]
.LBB4_1218:                             ;   in Loop: Header=BB4_1157 Depth=2
	s_andn2_saveexec_b64 s[42:43], s[42:43]
	s_cbranch_execz .LBB4_1220
; %bb.1219:                             ;   in Loop: Header=BB4_1157 Depth=2
	;;#ASMSTART
	s_waitcnt lgkmcnt(0) vmcnt(0)
	;;#ASMEND
	s_waitcnt vmcnt(0) lgkmcnt(0)
	s_barrier
.LBB4_1220:                             ;   in Loop: Header=BB4_1157 Depth=2
	s_or_b64 exec, exec, s[42:43]
.LBB4_1221:                             ;   in Loop: Header=BB4_1157 Depth=2
	s_or_b64 exec, exec, s[26:27]
	v_and_b32_e32 v0, 32, v59
	v_cmp_ne_u32_e32 vcc, 0, v0
	s_and_saveexec_b64 s[26:27], vcc
	s_cbranch_execz .LBB4_1156
; %bb.1222:                             ;   in Loop: Header=BB4_1157 Depth=2
	v_add_co_u32_e32 v36, vcc, 2, v36
	v_addc_co_u32_e32 v37, vcc, 0, v37, vcc
	flat_store_dwordx2 v[20:21], v[36:37]
	s_branch .LBB4_1156
.LBB4_1223:
	s_or_b64 exec, exec, s[58:59]
	buffer_load_dword v16, off, s[0:3], s33 offset:208 ; 4-byte Folded Reload
	buffer_load_dword v31, off, s[0:3], s33 offset:212 ; 4-byte Folded Reload
	;; [unrolled: 1-line block ×5, first 2 shown]
.LBB4_1224:
	s_or_b64 exec, exec, s[46:47]
	v_and_b32_e32 v0, 0x800, v59
	v_cmp_eq_u32_e32 vcc, 0, v0
	s_and_saveexec_b64 s[6:7], vcc
	s_cbranch_execz .LBB4_1257
; %bb.1225:
	v_and_b32_e32 v0, 48, v59
	v_cmp_ne_u32_e32 vcc, 0, v0
	s_and_saveexec_b64 s[4:5], vcc
	s_cbranch_execz .LBB4_1227
; %bb.1226:
	s_waitcnt vmcnt(0)
	flat_store_dwordx2 v[14:15], v[36:37] offset:104
.LBB4_1227:
	s_or_b64 exec, exec, s[4:5]
	s_movk_i32 s4, 0x88
	v_and_b32_e32 v0, 0x88, v59
	v_cmp_eq_u32_e32 vcc, s4, v0
	s_and_saveexec_b64 s[10:11], vcc
	s_cbranch_execz .LBB4_1237
; %bb.1228:
	v_add_u32_e32 v0, 6, v36
	v_and_b32_e32 v0, 7, v0
	v_mad_u64_u32 v[2:3], s[4:5], v0, 24, v[42:43]
	v_and_b32_e32 v4, 64, v59
	v_cmp_eq_u32_e64 s[4:5], 0, v4
	flat_load_dwordx2 v[0:1], v[2:3] offset:8 glc
	s_waitcnt vmcnt(0)
	s_mov_b32 s22, 0
	s_waitcnt lgkmcnt(0)
	v_cmp_ne_u64_e32 vcc, -1, v[0:1]
	s_and_b64 s[4:5], vcc, s[4:5]
	s_and_b64 exec, exec, s[4:5]
	s_cbranch_execz .LBB4_1237
; %bb.1229:
	s_mov_b64 s[4:5], 0
                                        ; implicit-def: $sgpr12_sgpr13
                                        ; implicit-def: $sgpr14_sgpr15
	s_branch .LBB4_1232
.LBB4_1230:                             ;   in Loop: Header=BB4_1232 Depth=1
	flat_load_dwordx2 v[4:5], v[2:3] offset:8 glc
	s_waitcnt vmcnt(0)
	s_andn2_b64 s[14:15], s[14:15], exec
	s_waitcnt lgkmcnt(0)
	v_cmp_eq_u64_e32 vcc, -1, v[4:5]
	s_orn2_b64 s[18:19], vcc, exec
.LBB4_1231:                             ;   in Loop: Header=BB4_1232 Depth=1
	s_or_b64 exec, exec, s[20:21]
	s_and_b64 s[16:17], exec, s[18:19]
	s_or_b64 s[4:5], s[16:17], s[4:5]
	s_andn2_b64 s[12:13], s[12:13], exec
	s_and_b64 s[16:17], s[14:15], exec
	s_or_b64 s[12:13], s[12:13], s[16:17]
	s_andn2_b64 exec, exec, s[4:5]
	s_cbranch_execz .LBB4_1235
.LBB4_1232:                             ; =>This Inner Loop Header: Depth=1
	s_cmpk_lt_i32 s22, 0x270f
	s_cselect_b64 s[16:17], -1, 0
	s_and_b64 vcc, exec, s[16:17]
	s_cbranch_vccnz .LBB4_1234
; %bb.1233:                             ;   in Loop: Header=BB4_1232 Depth=1
	s_trap 2
	ds_read_b64 v[0:1], v0
	s_andn2_b64 s[16:17], s[16:17], exec
	s_mov_b32 s22, 0
	s_waitcnt lgkmcnt(0)
	flat_load_dword v0, v[0:1] glc
	s_waitcnt vmcnt(0) lgkmcnt(0)
	buffer_wbinvl1_vol
	v_cmp_eq_u32_e32 vcc, 0, v0
	s_and_b64 s[18:19], vcc, exec
	s_or_b64 s[16:17], s[16:17], s[18:19]
	s_mov_b64 s[18:19], -1
	s_or_b64 s[14:15], s[14:15], exec
	s_and_saveexec_b64 s[20:21], s[16:17]
	s_cbranch_execz .LBB4_1231
	s_branch .LBB4_1230
.LBB4_1234:                             ;   in Loop: Header=BB4_1232 Depth=1
	s_add_i32 s22, s22, 1
                                        ; implicit-def: $vgpr0
	s_mov_b64 s[18:19], -1
	s_or_b64 s[14:15], s[14:15], exec
	s_and_saveexec_b64 s[20:21], s[16:17]
	s_cbranch_execz .LBB4_1231
	s_branch .LBB4_1230
.LBB4_1235:
	s_or_b64 exec, exec, s[4:5]
	s_and_saveexec_b64 s[4:5], s[12:13]
	s_xor_b64 s[4:5], exec, s[4:5]
	s_cbranch_execz .LBB4_1237
; %bb.1236:
	ds_write_b32 v0, v0
	s_trap 2
.LBB4_1237:
	s_or_b64 exec, exec, s[10:11]
	v_and_b32_e32 v0, 0x2000, v59
	v_cmp_ne_u32_e32 vcc, 0, v0
	s_and_saveexec_b64 s[4:5], vcc
	s_cbranch_execz .LBB4_1239
; %bb.1238:
	s_trap 2
	ds_read_b64 v[0:1], v0
	buffer_load_dword v2, off, s[0:3], s33 offset:228 ; 4-byte Folded Reload
	buffer_load_dword v3, off, s[0:3], s33 offset:232 ; 4-byte Folded Reload
	s_waitcnt vmcnt(0) lgkmcnt(0)
	flat_store_dwordx2 v[2:3], v[0:1] offset:16
.LBB4_1239:
	s_or_b64 exec, exec, s[4:5]
	s_waitcnt vmcnt(0)
	v_cmp_ne_u32_e32 vcc, 64, v16
	s_and_b64 exec, exec, vcc
	s_cbranch_execz .LBB4_1257
; %bb.1240:
	v_cmp_ne_u32_sdwa s[4:5], v16, v18 src0_sel:DWORD src1_sel:WORD_0
	s_and_saveexec_b64 s[10:11], s[4:5]
	s_xor_b64 s[4:5], exec, s[10:11]
	s_cbranch_execz .LBB4_1255
; %bb.1241:
	v_and_b32_e32 v0, 63, v31
	v_cmp_eq_u32_e32 vcc, 0, v0
	s_and_saveexec_b64 s[10:11], vcc
	s_cbranch_execz .LBB4_1254
; %bb.1242:
	s_mov_b64 s[14:15], exec
	v_mbcnt_lo_u32_b32 v0, s14, 0
	v_mbcnt_hi_u32_b32 v0, s15, v0
	v_cmp_eq_u32_e32 vcc, 0, v0
	s_waitcnt lgkmcnt(0)
	buffer_wbinvl1_vol
	s_and_saveexec_b64 s[12:13], vcc
	s_cbranch_execz .LBB4_1244
; %bb.1243:
	s_bcnt1_i32_b64 s14, s[14:15]
	v_mov_b32_e32 v0, s14
	v_mov_b32_e32 v1, 0
	ds_add_u64 v0, v[0:1]
	s_trap 2
.LBB4_1244:
	s_or_b64 exec, exec, s[12:13]
	v_lshrrev_b32_e32 v0, 6, v16
	s_trap 2
	ds_read_b64 v[2:3], v0
	s_waitcnt lgkmcnt(0)
	v_add_co_u32_e32 v0, vcc, v12, v0
	v_addc_co_u32_e32 v1, vcc, 0, v13, vcc
	v_cmp_lt_u64_e32 vcc, v[2:3], v[0:1]
	s_and_saveexec_b64 s[12:13], vcc
	s_cbranch_execz .LBB4_1253
; %bb.1245:
	s_mov_b32 s26, 0
	s_mov_b64 s[14:15], 0
                                        ; implicit-def: $sgpr16_sgpr17
                                        ; implicit-def: $sgpr18_sgpr19
	s_branch .LBB4_1247
.LBB4_1246:                             ;   in Loop: Header=BB4_1247 Depth=1
	s_or_b64 exec, exec, s[22:23]
	s_and_b64 s[20:21], exec, s[24:25]
	s_or_b64 s[14:15], s[20:21], s[14:15]
	s_andn2_b64 s[16:17], s[16:17], exec
	s_and_b64 s[20:21], s[18:19], exec
	s_or_b64 s[16:17], s[16:17], s[20:21]
	s_andn2_b64 exec, exec, s[14:15]
	s_cbranch_execz .LBB4_1251
.LBB4_1247:                             ; =>This Inner Loop Header: Depth=1
	s_add_i32 s26, s26, 1
	s_cmpk_lg_i32 s26, 0x2710
	s_cselect_b64 s[20:21], -1, 0
	s_and_b64 vcc, exec, s[20:21]
	s_cbranch_vccz .LBB4_1249
; %bb.1248:                             ;   in Loop: Header=BB4_1247 Depth=1
	s_mov_b64 s[24:25], -1
	s_or_b64 s[18:19], s[18:19], exec
	s_and_saveexec_b64 s[22:23], s[20:21]
	s_cbranch_execz .LBB4_1246
	s_branch .LBB4_1250
.LBB4_1249:                             ;   in Loop: Header=BB4_1247 Depth=1
	s_trap 2
	ds_read_b64 v[2:3], v0
	s_andn2_b64 s[20:21], s[20:21], exec
	s_mov_b32 s26, 0
	s_waitcnt lgkmcnt(0)
	flat_load_dword v2, v[2:3] glc
	s_waitcnt vmcnt(0) lgkmcnt(0)
	buffer_wbinvl1_vol
	v_cmp_eq_u32_e32 vcc, 0, v2
	s_and_b64 s[22:23], vcc, exec
	s_or_b64 s[20:21], s[20:21], s[22:23]
	s_mov_b64 s[24:25], -1
	s_or_b64 s[18:19], s[18:19], exec
	s_and_saveexec_b64 s[22:23], s[20:21]
	s_cbranch_execz .LBB4_1246
.LBB4_1250:                             ;   in Loop: Header=BB4_1247 Depth=1
	s_sleep 1
	s_trap 2
	ds_read_b64 v[2:3], v0
	s_waitcnt lgkmcnt(0)
	s_andn2_b64 s[18:19], s[18:19], exec
	v_cmp_ge_u64_e32 vcc, v[2:3], v[0:1]
	s_orn2_b64 s[24:25], vcc, exec
	s_branch .LBB4_1246
.LBB4_1251:
	s_or_b64 exec, exec, s[14:15]
	s_and_saveexec_b64 s[14:15], s[16:17]
	s_xor_b64 s[14:15], exec, s[14:15]
	s_cbranch_execz .LBB4_1253
; %bb.1252:
	v_mov_b32_e32 v0, 1
	ds_write_b32 v0, v0
	s_trap 2
.LBB4_1253:
	s_or_b64 exec, exec, s[12:13]
	;;#ASMSTART
	s_wakeup
	;;#ASMEND
.LBB4_1254:
	s_or_b64 exec, exec, s[10:11]
.LBB4_1255:
	s_andn2_saveexec_b64 s[4:5], s[4:5]
	s_cbranch_execz .LBB4_1257
; %bb.1256:
	s_waitcnt lgkmcnt(0)
	buffer_wbinvl1_vol
	s_barrier
.LBB4_1257:
	s_or_b64 exec, exec, s[6:7]
.LBB4_1258:
	s_andn2_saveexec_b64 s[26:27], s[44:45]
	s_cbranch_execz .LBB4_1260
; %bb.1259:
	s_getpc_b64 s[4:5]
	s_add_u32 s4, s4, __PRETTY_FUNCTION__._ZN10PrimitivesIf8FuncProdIfE12FanSymmetricILi1EELi0E11ProtoSimpleILi2ELi2ELi0ELi2ELi0ELi0EELi0ELb0ELi0ELi0ELi0EEC2EiiPKiS8_PKvPvmhhhP15ncclDevWorkCollP14ncclDevWorkP2pii@rel32@lo+4
	s_addc_u32 s5, s5, __PRETTY_FUNCTION__._ZN10PrimitivesIf8FuncProdIfE12FanSymmetricILi1EELi0E11ProtoSimpleILi2ELi2ELi0ELi2ELi0ELi0EELi0ELb0ELi0ELi0ELi0EEC2EiiPKiS8_PKvPvmhhhP15ncclDevWorkCollP14ncclDevWorkP2pii@rel32@hi+12
	s_getpc_b64 s[6:7]
	s_add_u32 s6, s6, __assert_fail@rel32@lo+4
	s_addc_u32 s7, s7, __assert_fail@rel32@hi+12
	v_mov_b32_e32 v0, s4
	v_mov_b32_e32 v1, s5
	s_swappc_b64 s[30:31], s[6:7]
	; divergent unreachable
.LBB4_1260:
	s_or_b64 exec, exec, s[26:27]
	buffer_load_dword v62, off, s[0:3], s33 ; 4-byte Folded Reload
	buffer_load_dword v61, off, s[0:3], s33 offset:4 ; 4-byte Folded Reload
	buffer_load_dword v60, off, s[0:3], s33 offset:8 ; 4-byte Folded Reload
	;; [unrolled: 1-line block ×4, first 2 shown]
	s_waitcnt lgkmcnt(0)
	buffer_load_dword v57, off, s[0:3], s33 offset:20 ; 4-byte Folded Reload
	buffer_load_dword v56, off, s[0:3], s33 offset:24 ; 4-byte Folded Reload
	;; [unrolled: 1-line block ×10, first 2 shown]
	v_readlane_b32 s30, v63, 24
	v_readlane_b32 s31, v63, 25
	;; [unrolled: 1-line block ×26, first 2 shown]
	s_mov_b32 s32, s33
	v_readlane_b32 s4, v63, 26
	s_or_saveexec_b64 s[6:7], -1
	buffer_load_dword v63, off, s[0:3], s33 offset:236 ; 4-byte Folded Reload
	s_mov_b64 exec, s[6:7]
	s_mov_b32 s33, s4
	s_waitcnt vmcnt(0)
	s_setpc_b64 s[30:31]
.Lfunc_end4:
	.size	_ZN12_GLOBAL__N_17runRingIf8FuncProdIfE11ProtoSimpleILi2ELi2ELi0ELi2ELi0ELi0EELi0ELi0ELi2ELi0EEEviiP15ncclDevWorkColl, .Lfunc_end4-_ZN12_GLOBAL__N_17runRingIf8FuncProdIfE11ProtoSimpleILi2ELi2ELi0ELi2ELi0ELi0EELi0ELi0ELi2ELi0EEEviiP15ncclDevWorkColl
                                        ; -- End function
	.set .L_ZN12_GLOBAL__N_17runRingIf8FuncProdIfE11ProtoSimpleILi2ELi2ELi0ELi2ELi0ELi0EELi0ELi0ELi2ELi0EEEviiP15ncclDevWorkColl.num_vgpr, max(64, .L__assert_fail.num_vgpr)
	.set .L_ZN12_GLOBAL__N_17runRingIf8FuncProdIfE11ProtoSimpleILi2ELi2ELi0ELi2ELi0ELi0EELi0ELi0ELi2ELi0EEEviiP15ncclDevWorkColl.num_agpr, max(0, .L__assert_fail.num_agpr)
	.set .L_ZN12_GLOBAL__N_17runRingIf8FuncProdIfE11ProtoSimpleILi2ELi2ELi0ELi2ELi0ELi0EELi0ELi0ELi2ELi0EEEviiP15ncclDevWorkColl.numbered_sgpr, max(96, .L__assert_fail.numbered_sgpr)
	.set .L_ZN12_GLOBAL__N_17runRingIf8FuncProdIfE11ProtoSimpleILi2ELi2ELi0ELi2ELi0ELi0EELi0ELi0ELi2ELi0EEEviiP15ncclDevWorkColl.num_named_barrier, max(0, .L__assert_fail.num_named_barrier)
	.set .L_ZN12_GLOBAL__N_17runRingIf8FuncProdIfE11ProtoSimpleILi2ELi2ELi0ELi2ELi0ELi0EELi0ELi0ELi2ELi0EEEviiP15ncclDevWorkColl.private_seg_size, 256+max(.L__assert_fail.private_seg_size)
	.set .L_ZN12_GLOBAL__N_17runRingIf8FuncProdIfE11ProtoSimpleILi2ELi2ELi0ELi2ELi0ELi0EELi0ELi0ELi2ELi0EEEviiP15ncclDevWorkColl.uses_vcc, or(1, .L__assert_fail.uses_vcc)
	.set .L_ZN12_GLOBAL__N_17runRingIf8FuncProdIfE11ProtoSimpleILi2ELi2ELi0ELi2ELi0ELi0EELi0ELi0ELi2ELi0EEEviiP15ncclDevWorkColl.uses_flat_scratch, or(0, .L__assert_fail.uses_flat_scratch)
	.set .L_ZN12_GLOBAL__N_17runRingIf8FuncProdIfE11ProtoSimpleILi2ELi2ELi0ELi2ELi0ELi0EELi0ELi0ELi2ELi0EEEviiP15ncclDevWorkColl.has_dyn_sized_stack, or(0, .L__assert_fail.has_dyn_sized_stack)
	.set .L_ZN12_GLOBAL__N_17runRingIf8FuncProdIfE11ProtoSimpleILi2ELi2ELi0ELi2ELi0ELi0EELi0ELi0ELi2ELi0EEEviiP15ncclDevWorkColl.has_recursion, or(1, .L__assert_fail.has_recursion)
	.set .L_ZN12_GLOBAL__N_17runRingIf8FuncProdIfE11ProtoSimpleILi2ELi2ELi0ELi2ELi0ELi0EELi0ELi0ELi2ELi0EEEviiP15ncclDevWorkColl.has_indirect_call, or(0, .L__assert_fail.has_indirect_call)
	.section	.AMDGPU.csdata,"",@progbits
; Function info:
; codeLenInByte = 38728
; TotalNumSgprs: 100
; NumVgprs: 64
; ScratchSize: 320
; MemoryBound: 1
	.text
	.p2align	2                               ; -- Begin function _Z48ncclDevFunc_AllReduce_RING_SIMPLE_Prod_f32_0_0_2v
	.type	_Z48ncclDevFunc_AllReduce_RING_SIMPLE_Prod_f32_0_0_2v,@function
_Z48ncclDevFunc_AllReduce_RING_SIMPLE_Prod_f32_0_0_2v: ; @_Z48ncclDevFunc_AllReduce_RING_SIMPLE_Prod_f32_0_0_2v
; %bb.0:
	s_waitcnt vmcnt(0) expcnt(0) lgkmcnt(0)
	s_mov_b32 s4, s33
	s_mov_b32 s33, s32
	s_or_saveexec_b64 s[6:7], -1
	buffer_store_dword v43, off, s[0:3], s33 offset:16 ; 4-byte Folded Spill
	s_mov_b64 exec, s[6:7]
	v_writelane_b32 v43, s4, 32
	s_addk_i32 s32, 0x800
	buffer_store_dword v40, off, s[0:3], s33 offset:12 ; 4-byte Folded Spill
	buffer_store_dword v41, off, s[0:3], s33 offset:8 ; 4-byte Folded Spill
	;; [unrolled: 1-line block ×3, first 2 shown]
	buffer_store_dword v63, off, s[0:3], s33 ; 4-byte Folded Spill
	v_writelane_b32 v43, s34, 0
	v_writelane_b32 v43, s35, 1
	;; [unrolled: 1-line block ×32, first 2 shown]
	s_trap 2
	ds_read_b32 v0, v0
	v_mov_b32_e32 v40, v31
	s_mov_b32 s84, s12
	s_mov_b64 s[82:83], s[8:9]
	s_waitcnt lgkmcnt(0)
	v_cmp_gt_i32_e32 vcc, 1, v0
	s_cbranch_vccnz .LBB5_8
; %bb.1:
	s_mov_b32 s85, 0
	v_and_b32_e32 v41, 0x3ff, v40
	v_mov_b32_e32 v42, 6
	s_branch .LBB5_3
.LBB5_2:                                ;   in Loop: Header=BB5_3 Depth=1
	s_or_b64 exec, exec, s[86:87]
	s_trap 2
	ds_read_b32 v0, v0
	s_add_i32 s85, s85, 1
	s_waitcnt lgkmcnt(0)
	v_cmp_lt_i32_e32 vcc, s85, v0
	s_cbranch_vccz .LBB5_8
.LBB5_3:                                ; =>This Inner Loop Header: Depth=1
	s_trap 2
	ds_read_b32 v0, v0
	s_cmp_eq_u32 s85, 0
	s_cbranch_scc1 .LBB5_6
; %bb.4:                                ;   in Loop: Header=BB5_3 Depth=1
	s_trap 2
	s_waitcnt lgkmcnt(0)
	ds_read_b32 v1, v0
	s_waitcnt lgkmcnt(0)
	v_xor_b32_e32 v1, v1, v0
	v_and_b32_e32 v1, 0xff0000, v1
	v_cmp_eq_u32_e32 vcc, 0, v1
	s_cbranch_vccnz .LBB5_6
; %bb.5:                                ;   in Loop: Header=BB5_3 Depth=1
	s_waitcnt vmcnt(0)
	s_barrier
	ds_read_b32 v0, v0
.LBB5_6:                                ;   in Loop: Header=BB5_3 Depth=1
	s_waitcnt lgkmcnt(0)
	v_lshlrev_b32_sdwa v1, v42, v0 dst_sel:DWORD dst_unused:UNUSED_PAD src0_sel:DWORD src1_sel:BYTE_2
	v_cmp_lt_u32_e32 vcc, v41, v1
	s_and_saveexec_b64 s[86:87], vcc
	s_cbranch_execz .LBB5_2
; %bb.7:                                ;   in Loop: Header=BB5_3 Depth=1
	s_mov_b64 s[4:5], src_shared_base
	s_getpc_b64 s[6:7]
	s_add_u32 s6, s6, _ZN12_GLOBAL__N_17runRingIf8FuncProdIfE11ProtoSimpleILi2ELi2ELi0ELi2ELi0ELi0EELi0ELi0ELi2ELi0EEEviiP15ncclDevWorkColl@rel32@lo+4
	s_addc_u32 s7, s7, _ZN12_GLOBAL__N_17runRingIf8FuncProdIfE11ProtoSimpleILi2ELi2ELi0ELi2ELi0ELi0EELi0ELi0ELi2ELi0EEEviiP15ncclDevWorkColl@rel32@hi+12
	s_mov_b64 s[8:9], s[82:83]
	s_mov_b32 s12, s84
	v_mov_b32_e32 v31, v40
	v_mov_b32_e32 v0, v41
	;; [unrolled: 1-line block ×3, first 2 shown]
	s_swappc_b64 s[30:31], s[6:7]
	s_branch .LBB5_2
.LBB5_8:
	buffer_load_dword v63, off, s[0:3], s33 ; 4-byte Folded Reload
	buffer_load_dword v42, off, s[0:3], s33 offset:4 ; 4-byte Folded Reload
	buffer_load_dword v41, off, s[0:3], s33 offset:8 ; 4-byte Folded Reload
	buffer_load_dword v40, off, s[0:3], s33 offset:12 ; 4-byte Folded Reload
	v_readlane_b32 s30, v43, 30
	v_readlane_b32 s31, v43, 31
	;; [unrolled: 1-line block ×32, first 2 shown]
	s_mov_b32 s32, s33
	v_readlane_b32 s4, v43, 32
	s_or_saveexec_b64 s[6:7], -1
	buffer_load_dword v43, off, s[0:3], s33 offset:16 ; 4-byte Folded Reload
	s_mov_b64 exec, s[6:7]
	s_mov_b32 s33, s4
	s_waitcnt vmcnt(0)
	s_setpc_b64 s[30:31]
.Lfunc_end5:
	.size	_Z48ncclDevFunc_AllReduce_RING_SIMPLE_Prod_f32_0_0_2v, .Lfunc_end5-_Z48ncclDevFunc_AllReduce_RING_SIMPLE_Prod_f32_0_0_2v
                                        ; -- End function
	.set .L_Z48ncclDevFunc_AllReduce_RING_SIMPLE_Prod_f32_0_0_2v.num_vgpr, max(64, .L_ZN12_GLOBAL__N_17runRingIf8FuncProdIfE11ProtoSimpleILi2ELi2ELi0ELi2ELi0ELi0EELi0ELi0ELi2ELi0EEEviiP15ncclDevWorkColl.num_vgpr)
	.set .L_Z48ncclDevFunc_AllReduce_RING_SIMPLE_Prod_f32_0_0_2v.num_agpr, max(0, .L_ZN12_GLOBAL__N_17runRingIf8FuncProdIfE11ProtoSimpleILi2ELi2ELi0ELi2ELi0ELi0EELi0ELi0ELi2ELi0EEEviiP15ncclDevWorkColl.num_agpr)
	.set .L_Z48ncclDevFunc_AllReduce_RING_SIMPLE_Prod_f32_0_0_2v.numbered_sgpr, max(88, .L_ZN12_GLOBAL__N_17runRingIf8FuncProdIfE11ProtoSimpleILi2ELi2ELi0ELi2ELi0ELi0EELi0ELi0ELi2ELi0EEEviiP15ncclDevWorkColl.numbered_sgpr)
	.set .L_Z48ncclDevFunc_AllReduce_RING_SIMPLE_Prod_f32_0_0_2v.num_named_barrier, max(0, .L_ZN12_GLOBAL__N_17runRingIf8FuncProdIfE11ProtoSimpleILi2ELi2ELi0ELi2ELi0ELi0EELi0ELi0ELi2ELi0EEEviiP15ncclDevWorkColl.num_named_barrier)
	.set .L_Z48ncclDevFunc_AllReduce_RING_SIMPLE_Prod_f32_0_0_2v.private_seg_size, 32+max(.L_ZN12_GLOBAL__N_17runRingIf8FuncProdIfE11ProtoSimpleILi2ELi2ELi0ELi2ELi0ELi0EELi0ELi0ELi2ELi0EEEviiP15ncclDevWorkColl.private_seg_size)
	.set .L_Z48ncclDevFunc_AllReduce_RING_SIMPLE_Prod_f32_0_0_2v.uses_vcc, or(1, .L_ZN12_GLOBAL__N_17runRingIf8FuncProdIfE11ProtoSimpleILi2ELi2ELi0ELi2ELi0ELi0EELi0ELi0ELi2ELi0EEEviiP15ncclDevWorkColl.uses_vcc)
	.set .L_Z48ncclDevFunc_AllReduce_RING_SIMPLE_Prod_f32_0_0_2v.uses_flat_scratch, or(0, .L_ZN12_GLOBAL__N_17runRingIf8FuncProdIfE11ProtoSimpleILi2ELi2ELi0ELi2ELi0ELi0EELi0ELi0ELi2ELi0EEEviiP15ncclDevWorkColl.uses_flat_scratch)
	.set .L_Z48ncclDevFunc_AllReduce_RING_SIMPLE_Prod_f32_0_0_2v.has_dyn_sized_stack, or(0, .L_ZN12_GLOBAL__N_17runRingIf8FuncProdIfE11ProtoSimpleILi2ELi2ELi0ELi2ELi0ELi0EELi0ELi0ELi2ELi0EEEviiP15ncclDevWorkColl.has_dyn_sized_stack)
	.set .L_Z48ncclDevFunc_AllReduce_RING_SIMPLE_Prod_f32_0_0_2v.has_recursion, or(1, .L_ZN12_GLOBAL__N_17runRingIf8FuncProdIfE11ProtoSimpleILi2ELi2ELi0ELi2ELi0ELi0EELi0ELi0ELi2ELi0EEEviiP15ncclDevWorkColl.has_recursion)
	.set .L_Z48ncclDevFunc_AllReduce_RING_SIMPLE_Prod_f32_0_0_2v.has_indirect_call, or(0, .L_ZN12_GLOBAL__N_17runRingIf8FuncProdIfE11ProtoSimpleILi2ELi2ELi0ELi2ELi0ELi0EELi0ELi0ELi2ELi0EEEviiP15ncclDevWorkColl.has_indirect_call)
	.section	.AMDGPU.csdata,"",@progbits
; Function info:
; codeLenInByte = 896
; TotalNumSgprs: 100
; NumVgprs: 64
; ScratchSize: 352
; MemoryBound: 0
	.text
	.p2align	2                               ; -- Begin function _ZN12_GLOBAL__N_17runRingIf8FuncProdIfE11ProtoSimpleILi2ELi2ELi0ELi4ELi0ELi0EELi0ELi0ELi4ELi0EEEviiP15ncclDevWorkColl
	.type	_ZN12_GLOBAL__N_17runRingIf8FuncProdIfE11ProtoSimpleILi2ELi2ELi0ELi4ELi0ELi0EELi0ELi0ELi4ELi0EEEviiP15ncclDevWorkColl,@function
_ZN12_GLOBAL__N_17runRingIf8FuncProdIfE11ProtoSimpleILi2ELi2ELi0ELi4ELi0ELi0EELi0ELi0ELi4ELi0EEEviiP15ncclDevWorkColl: ; @_ZN12_GLOBAL__N_17runRingIf8FuncProdIfE11ProtoSimpleILi2ELi2ELi0ELi4ELi0ELi0EELi0ELi0ELi4ELi0EEEviiP15ncclDevWorkColl
; %bb.0:
	s_waitcnt vmcnt(0) expcnt(0) lgkmcnt(0)
	s_mov_b32 s4, s33
	s_mov_b32 s33, s32
	s_or_saveexec_b64 s[6:7], -1
	buffer_store_dword v63, off, s[0:3], s33 offset:340 ; 4-byte Folded Spill
	s_mov_b64 exec, s[6:7]
	v_writelane_b32 v63, s4, 34
	s_addk_i32 s32, 0x5800
	buffer_store_dword v40, off, s[0:3], s33 offset:56 ; 4-byte Folded Spill
	buffer_store_dword v41, off, s[0:3], s33 offset:52 ; 4-byte Folded Spill
	;; [unrolled: 1-line block ×14, first 2 shown]
	buffer_store_dword v62, off, s[0:3], s33 ; 4-byte Folded Spill
	v_writelane_b32 v63, s34, 0
	v_writelane_b32 v63, s35, 1
	;; [unrolled: 1-line block ×34, first 2 shown]
	buffer_store_dword v31, off, s[0:3], s33 offset:324 ; 4-byte Folded Spill
	buffer_store_dword v1, off, s[0:3], s33 offset:312 ; 4-byte Folded Spill
	s_trap 2
	flat_load_dword v1, v[2:3]
	ds_read_b32 v4, v0
	v_mov_b32_e32 v32, v0
                                        ; implicit-def: $vgpr28_vgpr29
                                        ; implicit-def: $vgpr5_vgpr6
                                        ; kill: killed $vgpr5_vgpr6
                                        ; implicit-def: $vgpr14_vgpr15
	s_waitcnt lgkmcnt(0)
	v_readfirstlane_b32 s52, v4
	s_waitcnt vmcnt(0)
	v_cmp_ne_u32_sdwa s[4:5], v4, v1 src0_sel:DWORD src1_sel:BYTE_0
	s_and_saveexec_b64 s[6:7], s[4:5]
	s_xor_b64 s[4:5], exec, s[6:7]
	s_cbranch_execz .LBB6_6
; %bb.1:
	v_not_b32_sdwa v0, v1 dst_sel:DWORD dst_unused:UNUSED_PAD src0_sel:BYTE_0
	v_cmp_ne_u32_sdwa s[6:7], v4, v1 src0_sel:DWORD src1_sel:BYTE_1
                                        ; implicit-def: $vgpr28_vgpr29
                                        ; implicit-def: $vgpr5_vgpr6
                                        ; kill: killed $vgpr5_vgpr6
                                        ; implicit-def: $vgpr14_vgpr15
	s_and_saveexec_b64 s[10:11], s[6:7]
	s_xor_b64 s[6:7], exec, s[10:11]
	s_cbranch_execz .LBB6_3
; %bb.2:
	flat_load_dwordx4 v[5:8], v[2:3] offset:72
	flat_load_dwordx2 v[9:10], v[2:3] offset:96
	v_add_u32_e32 v0, v4, v0
	v_ashrrev_i32_e32 v1, 31, v0
	s_waitcnt vmcnt(0) lgkmcnt(0)
	v_mul_lo_u32 v1, v7, v1
	v_mad_u64_u32 v[4:5], s[10:11], v7, v0, v[5:6]
	v_mul_lo_u32 v0, v8, v0
	v_mov_b32_e32 v15, v8
	v_lshrrev_b64 v[28:29], 14, v[9:10]
	v_mov_b32_e32 v14, v7
	v_add3_u32 v5, v0, v5, v1
	buffer_store_dword v4, off, s[0:3], s33 offset:280 ; 4-byte Folded Spill
	s_nop 0
	buffer_store_dword v5, off, s[0:3], s33 offset:284 ; 4-byte Folded Spill
                                        ; implicit-def: $vgpr1
                                        ; implicit-def: $vgpr0
.LBB6_3:
	s_andn2_saveexec_b64 s[6:7], s[6:7]
	s_cbranch_execz .LBB6_5
; %bb.4:
	flat_load_dwordx4 v[4:7], v[2:3] offset:72
	flat_load_dwordx4 v[14:17], v[2:3] offset:88
	v_add_u32_sdwa v0, v1, v0 dst_sel:DWORD dst_unused:UNUSED_PAD src0_sel:BYTE_1 src1_sel:DWORD
	v_ashrrev_i32_e32 v1, 31, v0
	s_waitcnt vmcnt(0) lgkmcnt(0)
	v_mul_lo_u32 v1, v6, v1
	v_mad_u64_u32 v[4:5], s[10:11], v6, v0, v[4:5]
	v_mul_lo_u32 v0, v7, v0
	v_lshrrev_b32_e32 v28, 3, v17
	v_add3_u32 v5, v0, v5, v1
	buffer_store_dword v4, off, s[0:3], s33 offset:280 ; 4-byte Folded Spill
	s_nop 0
	buffer_store_dword v5, off, s[0:3], s33 offset:284 ; 4-byte Folded Spill
.LBB6_5:
	s_or_b64 exec, exec, s[6:7]
.LBB6_6:
	s_andn2_saveexec_b64 s[4:5], s[4:5]
	s_cbranch_execz .LBB6_8
; %bb.7:
	flat_load_dwordx2 v[0:1], v[2:3] offset:96
	flat_load_dwordx2 v[14:15], v[2:3] offset:72
	s_waitcnt vmcnt(0) lgkmcnt(0)
	v_lshlrev_b64 v[28:29], 7, v[0:1]
	v_mov_b32_e32 v0, 0
	v_mov_b32_e32 v1, 0
	buffer_store_dword v0, off, s[0:3], s33 offset:280 ; 4-byte Folded Spill
	s_nop 0
	buffer_store_dword v1, off, s[0:3], s33 offset:284 ; 4-byte Folded Spill
.LBB6_8:
	s_or_b64 exec, exec, s[4:5]
	s_trap 2
	buffer_load_dword v4, off, s[0:3], s33 offset:312 ; 4-byte Folded Reload
	ds_read_b64 v[0:1], v0
	s_waitcnt lgkmcnt(0)
	v_cmp_ne_u32_e32 vcc, -1, v0
	v_cndmask_b32_e64 v38, 0, 1, vcc
	v_cmp_ne_u32_e32 vcc, -1, v1
	v_addc_co_u32_e64 v0, s[4:5], 0, v38, vcc
	v_lshlrev_b32_e32 v1, 1, v0
	s_waitcnt vmcnt(0)
	v_cmp_le_u32_e64 s[4:5], v1, v4
	s_and_saveexec_b64 s[6:7], s[4:5]
	s_xor_b64 s[44:45], exec, s[6:7]
	s_cbranch_execz .LBB6_1260
; %bb.9:
	flat_load_dwordx4 v[10:13], v[2:3] offset:16
	flat_load_dwordx2 v[29:30], v[2:3] offset:104
	flat_load_ushort v7, v[2:3] offset:8
	flat_load_dword v6, v[2:3] offset:4
	s_trap 2
	s_load_dword s4, s[8:9], 0x0
	v_mov_b32_e32 v1, 0
	v_mov_b32_e32 v62, 4
	s_waitcnt lgkmcnt(0)
	s_cmp_lt_u32 s12, s4
	s_cselect_b32 s4, 12, 18
	s_add_u32 s4, s8, s4
	s_addc_u32 s5, s9, 0
	global_load_ushort v1, v1, s[4:5]
	v_cmp_ge_i32_e64 s[4:5], v32, v38
	s_waitcnt vmcnt(0)
	buffer_store_dword v1, off, s[0:3], s33 offset:328 ; 4-byte Folded Spill
	ds_read_b32 v1, v0
	s_waitcnt lgkmcnt(0)
	v_readfirstlane_b32 s18, v1
	s_and_saveexec_b64 s[6:7], s[4:5]
	s_cbranch_execz .LBB6_19
; %bb.10:
	v_cmp_ge_u32_e64 s[4:5], v32, v0
                                        ; implicit-def: $vgpr62
	s_and_saveexec_b64 s[10:11], s[4:5]
	s_xor_b64 s[4:5], exec, s[10:11]
	s_cbranch_execz .LBB6_16
; %bb.11:
	buffer_load_dword v4, off, s[0:3], s33 offset:312 ; 4-byte Folded Reload
	v_cndmask_b32_e64 v1, 0, 1, vcc
	s_waitcnt vmcnt(0)
	v_sub_u32_e32 v1, v4, v1
	v_cmp_ge_u32_e32 vcc, v32, v1
	s_and_saveexec_b64 s[10:11], vcc
	s_xor_b64 s[10:11], exec, s[10:11]
; %bb.12:
                                        ; implicit-def: $vgpr0
; %bb.13:
	s_or_saveexec_b64 s[10:11], s[10:11]
	v_mov_b32_e32 v62, 16
	s_xor_b64 exec, exec, s[10:11]
	s_cbranch_execz .LBB6_15
; %bb.14:
	buffer_load_dword v1, off, s[0:3], s33 offset:312 ; 4-byte Folded Reload
	s_waitcnt vmcnt(0)
	v_sub_u32_e32 v0, v1, v0
	v_cmp_lt_i32_e32 vcc, v32, v0
	v_cndmask_b32_e64 v62, 32, 0, vcc
.LBB6_15:
	s_or_b64 exec, exec, s[10:11]
.LBB6_16:
	s_andn2_saveexec_b64 s[4:5], s[4:5]
; %bb.17:
	v_mov_b32_e32 v62, 8
; %bb.18:
	s_or_b64 exec, exec, s[4:5]
.LBB6_19:
	s_or_b64 exec, exec, s[6:7]
	v_and_b32_e32 v0, 36, v62
	v_cmp_ne_u32_e32 vcc, 0, v0
	v_mov_b32_e32 v8, -1
	s_and_saveexec_b64 s[4:5], vcc
	s_cbranch_execz .LBB6_21
; %bb.20:
	s_trap 2
	ds_read_b32 v8, v0
.LBB6_21:
	s_or_b64 exec, exec, s[4:5]
	v_and_b32_e32 v0, 24, v62
	v_cmp_ne_u32_e64 s[4:5], 0, v0
	s_and_saveexec_b64 s[6:7], s[4:5]
	s_cbranch_execz .LBB6_23
; %bb.22:
	s_trap 2
	s_waitcnt lgkmcnt(0)
	ds_read_b32 v8, v0
.LBB6_23:
	s_or_b64 exec, exec, s[6:7]
	v_mov_b32_e32 v4, 0
	v_lshrrev_b64 v[0:1], 31, v[6:7]
	v_mov_b32_e32 v5, 0
	buffer_store_dword v4, off, s[0:3], s33 offset:316 ; 4-byte Folded Spill
	s_nop 0
	buffer_store_dword v5, off, s[0:3], s33 offset:320 ; 4-byte Folded Spill
	v_mov_b32_e32 v19, 0
	v_mov_b32_e32 v20, 0
	v_and_b32_e32 v0, 3, v0
                                        ; implicit-def: $vgpr4_vgpr5
                                        ; kill: killed $vgpr4_vgpr5
                                        ; implicit-def: $vgpr58
                                        ; implicit-def: $vgpr50_vgpr51
                                        ; implicit-def: $vgpr4_vgpr5
                                        ; kill: killed $vgpr4_vgpr5
                                        ; implicit-def: $vgpr26_vgpr27
                                        ; implicit-def: $vgpr60_vgpr61
	s_and_saveexec_b64 s[4:5], vcc
	s_cbranch_execz .LBB6_33
; %bb.24:
	s_trap 2
	ds_read_b64 v[4:5], v0
	s_waitcnt lgkmcnt(1)
	v_ashrrev_i32_e32 v9, 31, v8
	v_lshlrev_b64 v[6:7], 3, v[8:9]
	v_and_b32_e32 v1, 0xffff, v0
	s_movk_i32 s6, 0xa8
	s_waitcnt lgkmcnt(0)
	v_add_co_u32_e32 v4, vcc, v4, v6
	v_addc_co_u32_e32 v5, vcc, v5, v7, vcc
	flat_load_dwordx2 v[4:5], v[4:5]
	s_waitcnt vmcnt(0) lgkmcnt(0)
	v_mad_u64_u32 v[24:25], s[6:7], v1, s6, v[4:5]
                                        ; implicit-def: $vgpr4_vgpr5
                                        ; kill: killed $vgpr4_vgpr5
	flat_load_dword v1, v[24:25] offset:640
	s_waitcnt vmcnt(0) lgkmcnt(0)
	v_cmp_eq_u32_e32 vcc, 1, v1
	s_and_saveexec_b64 s[6:7], vcc
	s_cbranch_execz .LBB6_26
; %bb.25:
	flat_load_dwordx2 v[6:7], v[24:25] offset:648
	v_or_b32_e32 v62, 0x2000, v62
	s_waitcnt vmcnt(0) lgkmcnt(0)
	flat_load_dwordx2 v[4:5], v[6:7]
	s_trap 2
	s_waitcnt vmcnt(0) lgkmcnt(0)
	ds_write_b64 v0, v[4:5]
	flat_load_dwordx2 v[4:5], v[6:7] offset:8
	s_waitcnt vmcnt(0) lgkmcnt(0)
	ds_write_b64 v0, v[4:5]
	buffer_store_dword v6, off, s[0:3], s33 offset:332 ; 4-byte Folded Spill
	s_nop 0
	buffer_store_dword v7, off, s[0:3], s33 offset:336 ; 4-byte Folded Spill
	flat_load_dwordx2 v[4:5], v[6:7] offset:16
	s_waitcnt vmcnt(0) lgkmcnt(0)
	ds_write_b64 v0, v[4:5]
.LBB6_26:
	s_or_b64 exec, exec, s[6:7]
	flat_load_dwordx2 v[4:5], v[24:25] offset:608
	v_and_b32_e32 v1, 32, v62
                                        ; implicit-def: $vgpr60_vgpr61
	s_waitcnt vmcnt(0) lgkmcnt(0)
	v_add_co_u32_e32 v4, vcc, 3, v4
	v_addc_co_u32_e32 v51, vcc, 0, v5, vcc
	v_and_b32_e32 v50, -4, v4
	v_cmp_ne_u32_e32 vcc, 0, v1
	s_and_saveexec_b64 s[6:7], vcc
	s_cbranch_execz .LBB6_28
; %bb.27:
	flat_load_dwordx2 v[60:61], v[24:25] offset:560
	s_waitcnt vmcnt(0) lgkmcnt(0)
	flat_store_dwordx2 v[60:61], v[50:51]
.LBB6_28:
	s_or_b64 exec, exec, s[6:7]
	v_add_co_u32_e32 v4, vcc, 0x1f8, v24
	v_addc_co_u32_e32 v5, vcc, 0, v25, vcc
	v_and_b32_e32 v1, 4, v62
	v_mov_b32_e32 v19, 0
	buffer_store_dword v4, off, s[0:3], s33 offset:316 ; 4-byte Folded Spill
	s_nop 0
	buffer_store_dword v5, off, s[0:3], s33 offset:320 ; 4-byte Folded Spill
	v_mov_b32_e32 v20, 0
	v_cmp_ne_u32_e32 vcc, 0, v1
                                        ; implicit-def: $vgpr58
                                        ; implicit-def: $vgpr4_vgpr5
                                        ; kill: killed $vgpr4_vgpr5
                                        ; implicit-def: $vgpr26_vgpr27
	s_and_saveexec_b64 s[6:7], vcc
	s_cbranch_execz .LBB6_32
; %bb.29:
	v_and_b32_e32 v1, 0x800, v62
	v_cmp_eq_u32_e32 vcc, 0, v1
	s_and_saveexec_b64 s[10:11], vcc
	s_cbranch_execz .LBB6_31
; %bb.30:
	s_trap 2
	buffer_load_dword v4, off, s[0:3], s33 offset:316 ; 4-byte Folded Reload
	buffer_load_dword v5, off, s[0:3], s33 offset:320 ; 4-byte Folded Reload
	s_waitcnt vmcnt(0)
	ds_write_b64 v0, v[4:5]
.LBB6_31:
	s_or_b64 exec, exec, s[10:11]
	flat_load_dwordx2 v[60:61], v[24:25] offset:552
	s_waitcnt vmcnt(0) lgkmcnt(0)
	flat_load_dwordx2 v[26:27], v[60:61] glc
	flat_load_dword v1, v[24:25] offset:576
	flat_load_dwordx2 v[19:20], v[24:25] offset:600
	flat_load_dwordx2 v[4:5], v[24:25] offset:520
	s_waitcnt vmcnt(0) lgkmcnt(0)
	buffer_store_dword v4, off, s[0:3], s33 offset:164 ; 4-byte Folded Spill
	s_nop 0
	buffer_store_dword v5, off, s[0:3], s33 offset:168 ; 4-byte Folded Spill
	v_cmp_eq_u64_e32 vcc, 0, v[19:20]
	v_or_b32_e32 v4, 0x100, v62
	v_ashrrev_i32_e32 v58, 2, v1
	v_cndmask_b32_e32 v62, v4, v62, vcc
.LBB6_32:
	s_or_b64 exec, exec, s[6:7]
.LBB6_33:
	s_or_b64 exec, exec, s[4:5]
	v_and_b32_e32 v1, 24, v62
	v_cmp_ne_u32_e32 vcc, 0, v1
                                        ; implicit-def: $vgpr4_vgpr5
                                        ; kill: killed $vgpr4_vgpr5
	s_and_saveexec_b64 s[4:5], vcc
	s_cbranch_execz .LBB6_41
; %bb.34:
	s_trap 2
	ds_read_b64 v[4:5], v0
	s_waitcnt lgkmcnt(0)
	v_ashrrev_i32_e32 v9, 31, v8
	v_lshlrev_b64 v[6:7], 3, v[8:9]
	v_and_b32_e32 v0, 0xffff, v0
	s_movk_i32 s6, 0xa8
	v_add_co_u32_e32 v4, vcc, v4, v6
	v_addc_co_u32_e32 v5, vcc, v5, v7, vcc
	flat_load_dwordx2 v[4:5], v[4:5]
	s_waitcnt vmcnt(0) lgkmcnt(0)
	v_mad_u64_u32 v[0:1], s[6:7], v0, s6, v[4:5]
	buffer_store_dword v0, off, s[0:3], s33 offset:316 ; 4-byte Folded Spill
	s_nop 0
	buffer_store_dword v1, off, s[0:3], s33 offset:320 ; 4-byte Folded Spill
	flat_load_dwordx4 v[19:22], v[0:1] offset:96
	v_or_b32_e32 v0, 0x100, v62
	s_waitcnt vmcnt(0) lgkmcnt(0)
	v_cmp_eq_u64_e32 vcc, 0, v[19:20]
	v_cndmask_b32_e32 v62, v0, v62, vcc
	v_and_b32_e32 v0, 16, v62
	v_cmp_ne_u32_e32 vcc, 0, v0
                                        ; implicit-def: $vgpr0_vgpr1
                                        ; kill: killed $vgpr0_vgpr1
	s_and_saveexec_b64 s[6:7], vcc
	s_cbranch_execz .LBB6_36
; %bb.35:
	buffer_load_dword v0, off, s[0:3], s33 offset:316 ; 4-byte Folded Reload
	buffer_load_dword v1, off, s[0:3], s33 offset:320 ; 4-byte Folded Reload
	s_waitcnt vmcnt(0)
	flat_load_dwordx2 v[60:61], v[0:1] offset:48
	flat_load_dwordx2 v[4:5], v[0:1] offset:120
	s_waitcnt vmcnt(0) lgkmcnt(0)
	buffer_store_dword v4, off, s[0:3], s33 offset:172 ; 4-byte Folded Spill
	s_nop 0
	buffer_store_dword v5, off, s[0:3], s33 offset:176 ; 4-byte Folded Spill
	flat_load_dwordx2 v[0:1], v[0:1] offset:16
	s_waitcnt vmcnt(0) lgkmcnt(0)
	buffer_store_dword v0, off, s[0:3], s33 offset:164 ; 4-byte Folded Spill
	s_nop 0
	buffer_store_dword v1, off, s[0:3], s33 offset:168 ; 4-byte Folded Spill
.LBB6_36:
	s_or_b64 exec, exec, s[6:7]
	v_add_co_u32_e32 v0, vcc, 3, v21
	v_addc_co_u32_e32 v51, vcc, 0, v22, vcc
	v_and_b32_e32 v50, -4, v0
	v_and_b32_e32 v0, 8, v62
	v_cmp_ne_u32_e32 vcc, 0, v0
	s_and_saveexec_b64 s[6:7], vcc
	s_cbranch_execz .LBB6_40
; %bb.37:
	v_and_b32_e32 v0, 0x800, v62
	v_cmp_eq_u32_e32 vcc, 0, v0
	s_and_saveexec_b64 s[10:11], vcc
	s_cbranch_execz .LBB6_39
; %bb.38:
	s_trap 2
	buffer_load_dword v0, off, s[0:3], s33 offset:316 ; 4-byte Folded Reload
	buffer_load_dword v1, off, s[0:3], s33 offset:320 ; 4-byte Folded Reload
	s_waitcnt vmcnt(0)
	ds_write_b64 v0, v[0:1]
.LBB6_39:
	s_or_b64 exec, exec, s[10:11]
	buffer_load_dword v4, off, s[0:3], s33 offset:316 ; 4-byte Folded Reload
	buffer_load_dword v5, off, s[0:3], s33 offset:320 ; 4-byte Folded Reload
	s_waitcnt vmcnt(0)
	flat_load_dwordx2 v[60:61], v[4:5] offset:56
	s_waitcnt vmcnt(0) lgkmcnt(0)
	flat_load_dwordx2 v[26:27], v[60:61] glc
	flat_load_dword v0, v[4:5] offset:72
	s_nop 0
	flat_load_dwordx2 v[4:5], v[4:5] offset:16
	s_waitcnt vmcnt(0) lgkmcnt(0)
	buffer_store_dword v4, off, s[0:3], s33 offset:164 ; 4-byte Folded Spill
	s_nop 0
	buffer_store_dword v5, off, s[0:3], s33 offset:168 ; 4-byte Folded Spill
	v_ashrrev_i32_e32 v58, 2, v0
.LBB6_40:
	s_or_b64 exec, exec, s[6:7]
.LBB6_41:
	s_or_b64 exec, exec, s[4:5]
	v_cmp_eq_u32_e64 s[4:5], 0, v32
	s_and_saveexec_b64 s[6:7], s[4:5]
	s_cbranch_execz .LBB6_43
; %bb.42:
	flat_load_dwordx2 v[0:1], v[2:3] offset:32
	v_mov_b32_e32 v4, v12
	v_mov_b32_e32 v5, v13
	;; [unrolled: 1-line block ×4, first 2 shown]
	s_waitcnt vmcnt(0) lgkmcnt(0)
	ds_write2_b64 v0, v[4:5], v[6:7] offset1:1
	s_trap 2
	ds_write_b64 v0, v[0:1]
	ds_write_b64 v0, v[29:30]
.LBB6_43:
	s_or_b64 exec, exec, s[6:7]
	v_mov_b32_e32 v12, 0
	v_cmp_lt_i64_e32 vcc, 0, v[14:15]
	v_mov_b32_e32 v13, 0
	s_and_saveexec_b64 s[46:47], vcc
	s_cbranch_execz .LBB6_1226
; %bb.44:
	flat_load_dword v0, v[2:3] offset:4
	buffer_load_dword v1, off, s[0:3], s33 offset:324 ; 4-byte Folded Reload
	s_ashr_i32 s16, s18, 31
	buffer_load_dword v3, off, s[0:3], s33 offset:312 ; 4-byte Folded Reload
	s_trap 2
	buffer_load_dword v2, off, s[0:3], s33 offset:328 ; 4-byte Folded Reload
	s_lshr_b32 s21, s16, 29
	s_movk_i32 s19, 0x400
	buffer_load_dword v30, off, s[0:3], s33 offset:172 ; 4-byte Folded Reload
	buffer_load_dword v31, off, s[0:3], s33 offset:176 ; 4-byte Folded Reload
	s_add_i32 s24, s18, s21
	s_movk_i32 s20, 0x100
	v_mov_b32_e32 v23, 0
	s_waitcnt lgkmcnt(0)
	v_and_b32_e32 v8, 0xfffff80, v28
	v_mov_b32_e32 v9, v23
	s_ashr_i32 s53, s52, 31
	s_ashr_i32 s25, s24, 5
	s_add_u32 s68, s52, -1
	s_addc_u32 s69, s53, -1
	s_add_i32 s70, s52, s52
	s_not_b32 s26, s52
	s_cmp_gt_i32 s52, 0
	s_cselect_b32 s26, s26, -1
	s_ashr_i32 s24, s24, 31
	s_lshr_b32 s24, s24, 28
	s_add_i32 s71, s26, s70
	s_add_i32 s25, s25, s24
	s_ashr_i32 s80, s71, 31
	s_ashr_i32 s81, s25, 4
	s_cmp_gt_i32 s52, 2
	s_cselect_b64 s[60:61], -1, 0
	s_add_i32 s26, s52, 1
	v_mov_b32_e32 v12, 0
	v_ashrrev_i32_e32 v59, 31, v58
	s_mov_b64 s[58:59], 0
	s_movk_i32 s54, 0xfc00
	s_movk_i32 s55, 0xff00
	v_mov_b32_e32 v47, 1
	s_movk_i32 s64, 0x1000
	s_movk_i32 s65, 0x108
	;; [unrolled: 1-line block ×7, first 2 shown]
	v_mov_b32_e32 v13, 0
	s_waitcnt vmcnt(0)
	v_and_b32_e32 v0, 1, v0
	v_and_b32_e32 v1, 63, v1
	v_cmp_eq_u32_e64 s[16:17], 0, v1
	v_lshrrev_b32_e32 v49, 6, v3
	v_lshlrev_b32_e32 v24, 10, v49
	v_cmp_ne_u32_sdwa s[56:57], v3, v2 src0_sel:DWORD src1_sel:WORD_0
	v_ashrrev_i32_e32 v2, 31, v32
	v_lshrrev_b32_e32 v1, 26, v2
	v_cmp_ge_i32_e32 vcc, v32, v3
	v_cmp_eq_u32_e64 s[6:7], 64, v3
	v_cmp_ne_u32_e64 s[10:11], 64, v3
	v_lshlrev_b32_e32 v3, 2, v3
	v_lshlrev_b32_e32 v2, 11, v49
	v_add_u32_e32 v1, v32, v1
	v_add_u32_e32 v17, 0xfffffc00, v24
	buffer_store_dword v2, off, s[0:3], s33 offset:160 ; 4-byte Folded Spill
	v_and_b32_e32 v16, 0xff00, v3
	v_ashrrev_i32_e32 v2, 6, v1
	v_ashrrev_i32_e32 v4, 31, v17
	v_add_co_u32_e64 v7, s[18:19], s19, v17
	v_add_u32_e32 v3, 0xffffff00, v16
	buffer_store_dword v2, off, s[0:3], s33 offset:80 ; 4-byte Folded Spill
	buffer_store_dword v7, off, s[0:3], s33 offset:208 ; 4-byte Folded Spill
	;; [unrolled: 1-line block ×3, first 2 shown]
	v_addc_co_u32_e64 v4, s[18:19], 0, v4, s[18:19]
	v_and_b32_e32 v1, 0xffffffc0, v1
	v_ashrrev_i32_e32 v5, 31, v3
	buffer_store_dword v4, off, s[0:3], s33 offset:100 ; 4-byte Folded Spill
	buffer_store_dword v3, off, s[0:3], s33 offset:64 ; 4-byte Folded Spill
	v_add_co_u32_e64 v3, s[18:19], s20, v3
	v_sub_u32_e32 v6, v32, v1
	buffer_store_dword v3, off, s[0:3], s33 offset:72 ; 4-byte Folded Spill
	buffer_store_dword v5, off, s[0:3], s33 offset:68 ; 4-byte Folded Spill
	v_addc_co_u32_e64 v3, s[18:19], 0, v5, s[18:19]
	buffer_store_dword v3, off, s[0:3], s33 offset:76 ; 4-byte Folded Spill
	buffer_store_dword v6, off, s[0:3], s33 offset:180 ; 4-byte Folded Spill
	;; [unrolled: 1-line block ×3, first 2 shown]
	s_nop 0
	buffer_store_dword v9, off, s[0:3], s33 offset:196 ; 4-byte Folded Spill
	v_cmp_eq_u32_e64 s[24:25], 1, v0
	s_xor_b64 s[62:63], s[24:25], -1
	v_lshlrev_b32_e32 v1, 13, v2
	s_cmp_ge_i32 s26, s52
	v_lshlrev_b32_e32 v2, 12, v2
	v_lshl_add_u32 v43, v6, 4, v1
	s_cselect_b32 s27, s52, 0
	v_sub_u32_e32 v25, v43, v2
	s_sub_i32 s83, s26, s27
	v_mov_b32_e32 v0, v19
	v_mov_b32_e32 v1, v20
	v_cmp_eq_u64_e64 s[12:13], 0, v[30:31]
	v_cmp_ne_u64_e64 s[14:15], 0, v[30:31]
	v_mov_b32_e32 v4, 0
	v_lshlrev_b32_e32 v18, 13, v49
	v_lshlrev_b32_e32 v46, 12, v49
	v_cmp_gt_i32_e64 s[18:19], 1, v6
	v_cmp_lt_i32_e64 s[20:21], v6, v38
	v_cmp_le_i32_e64 s[22:23], v6, v38
	v_ashrrev_i32_e32 v48, 31, v43
	v_ashrrev_i32_e32 v45, 31, v25
	s_add_i32 s82, s52, -2
	s_xor_b64 s[72:73], vcc, -1
	s_ashr_i32 s84, s83, 31
	s_ashr_i32 s74, s53, 31
	v_mov_b32_e32 v5, 0
	v_mad_i64_i32 v[2:3], s[26:27], v8, s52, 0
	buffer_store_dword v0, off, s[0:3], s33 offset:144 ; 4-byte Folded Spill
	s_nop 0
	buffer_store_dword v1, off, s[0:3], s33 offset:148 ; 4-byte Folded Spill
	buffer_store_dword v2, off, s[0:3], s33 offset:152 ; 4-byte Folded Spill
	;; [unrolled: 1-line block ×4, first 2 shown]
	buffer_load_dword v28, off, s[0:3], s33 offset:164 ; 4-byte Folded Reload
	buffer_load_dword v29, off, s[0:3], s33 offset:168 ; 4-byte Folded Reload
	s_nop 0
	buffer_store_dword v59, off, s[0:3], s33 offset:204 ; 4-byte Folded Spill
	buffer_store_dword v49, off, s[0:3], s33 offset:84 ; 4-byte Folded Spill
	;; [unrolled: 1-line block ×12, first 2 shown]
	s_nop 0
	buffer_store_dword v3, off, s[0:3], s33 offset:308 ; 4-byte Folded Spill
	buffer_store_dword v32, off, s[0:3], s33 offset:220 ; 4-byte Folded Spill
	;; [unrolled: 1-line block ×3, first 2 shown]
	s_nop 0
	buffer_store_dword v15, off, s[0:3], s33 offset:292 ; 4-byte Folded Spill
	buffer_store_dword v16, off, s[0:3], s33 offset:296 ; 4-byte Folded Spill
	;; [unrolled: 1-line block ×3, first 2 shown]
	s_branch .LBB6_47
.LBB6_45:                               ;   in Loop: Header=BB6_47 Depth=1
	s_or_b64 exec, exec, s[40:41]
.LBB6_46:                               ;   in Loop: Header=BB6_47 Depth=1
	s_or_b64 exec, exec, s[28:29]
	buffer_load_dword v2, off, s[0:3], s33 offset:304 ; 4-byte Folded Reload
	buffer_load_dword v3, off, s[0:3], s33 offset:308 ; 4-byte Folded Reload
	buffer_load_dword v14, off, s[0:3], s33 offset:288 ; 4-byte Folded Reload
	buffer_load_dword v15, off, s[0:3], s33 offset:292 ; 4-byte Folded Reload
	buffer_load_dword v16, off, s[0:3], s33 offset:296 ; 4-byte Folded Reload
	buffer_load_dword v17, off, s[0:3], s33 offset:300 ; 4-byte Folded Reload
	buffer_load_dword v16, off, s[0:3], s33 offset:136 ; 4-byte Folded Reload
	buffer_load_dword v17, off, s[0:3], s33 offset:140 ; 4-byte Folded Reload
	s_waitcnt vmcnt(0)
	v_add_co_u32_e32 v4, vcc, v4, v2
	v_addc_co_u32_e32 v5, vcc, v5, v3, vcc
	v_cmp_ge_i64_e32 vcc, v[4:5], v[14:15]
	s_or_b64 s[58:59], vcc, s[58:59]
	s_andn2_b64 exec, exec, s[58:59]
	s_cbranch_execz .LBB6_1225
.LBB6_47:                               ; =>This Loop Header: Depth=1
                                        ;     Child Loop BB6_57 Depth 2
                                        ;       Child Loop BB6_65 Depth 3
                                        ;       Child Loop BB6_89 Depth 3
	;; [unrolled: 1-line block ×9, first 2 shown]
                                        ;     Child Loop BB6_200 Depth 2
                                        ;       Child Loop BB6_206 Depth 3
                                        ;       Child Loop BB6_230 Depth 3
	;; [unrolled: 1-line block ×3, first 2 shown]
                                        ;     Child Loop BB6_270 Depth 2
                                        ;       Child Loop BB6_273 Depth 3
                                        ;         Child Loop BB6_281 Depth 4
                                        ;         Child Loop BB6_309 Depth 4
                                        ;         Child Loop BB6_328 Depth 4
                                        ;         Child Loop BB6_354 Depth 4
                                        ;         Child Loop BB6_359 Depth 4
                                        ;         Child Loop BB6_367 Depth 4
                                        ;         Child Loop BB6_372 Depth 4
                                        ;         Child Loop BB6_381 Depth 4
                                        ;         Child Loop BB6_400 Depth 4
                                        ;       Child Loop BB6_419 Depth 3
                                        ;         Child Loop BB6_425 Depth 4
                                        ;         Child Loop BB6_453 Depth 4
	;; [unrolled: 1-line block ×3, first 2 shown]
                                        ;     Child Loop BB6_498 Depth 2
                                        ;       Child Loop BB6_506 Depth 3
                                        ;       Child Loop BB6_534 Depth 3
	;; [unrolled: 1-line block ×9, first 2 shown]
                                        ;         Child Loop BB6_588 Depth 4
                                        ;       Child Loop BB6_597 Depth 3
                                        ;       Child Loop BB6_602 Depth 3
                                        ;         Child Loop BB6_603 Depth 4
                                        ;       Child Loop BB6_641 Depth 3
                                        ;       Child Loop BB6_660 Depth 3
                                        ;     Child Loop BB6_678 Depth 2
                                        ;       Child Loop BB6_684 Depth 3
                                        ;       Child Loop BB6_712 Depth 3
	;; [unrolled: 1-line block ×3, first 2 shown]
                                        ;     Child Loop BB6_754 Depth 2
                                        ;       Child Loop BB6_757 Depth 3
                                        ;         Child Loop BB6_765 Depth 4
                                        ;         Child Loop BB6_793 Depth 4
	;; [unrolled: 1-line block ×9, first 2 shown]
                                        ;           Child Loop BB6_848 Depth 5
                                        ;         Child Loop BB6_857 Depth 4
                                        ;         Child Loop BB6_862 Depth 4
                                        ;           Child Loop BB6_863 Depth 5
                                        ;         Child Loop BB6_901 Depth 4
                                        ;         Child Loop BB6_920 Depth 4
                                        ;       Child Loop BB6_938 Depth 3
                                        ;         Child Loop BB6_944 Depth 4
                                        ;         Child Loop BB6_972 Depth 4
	;; [unrolled: 1-line block ×3, first 2 shown]
                                        ;     Child Loop BB6_1018 Depth 2
                                        ;       Child Loop BB6_1026 Depth 3
                                        ;       Child Loop BB6_1050 Depth 3
	;; [unrolled: 1-line block ×9, first 2 shown]
                                        ;     Child Loop BB6_1159 Depth 2
                                        ;       Child Loop BB6_1165 Depth 3
                                        ;       Child Loop BB6_1189 Depth 3
	;; [unrolled: 1-line block ×3, first 2 shown]
	v_sub_co_u32_e32 v0, vcc, v14, v4
	buffer_store_dword v4, off, s[0:3], s33 offset:240 ; 4-byte Folded Spill
	s_nop 0
	buffer_store_dword v5, off, s[0:3], s33 offset:244 ; 4-byte Folded Spill
	v_subb_co_u32_e32 v1, vcc, v15, v5, vcc
	buffer_store_dword v0, off, s[0:3], s33 offset:184 ; 4-byte Folded Spill
	s_nop 0
	buffer_store_dword v1, off, s[0:3], s33 offset:188 ; 4-byte Folded Spill
	v_cmp_lt_i64_e32 vcc, v[0:1], v[2:3]
	s_and_saveexec_b64 s[28:29], vcc
	s_cbranch_execz .LBB6_53
; %bb.48:                               ;   in Loop: Header=BB6_47 Depth=1
	buffer_load_dword v2, off, s[0:3], s33 offset:184 ; 4-byte Folded Reload
	buffer_load_dword v3, off, s[0:3], s33 offset:188 ; 4-byte Folded Reload
	v_mov_b32_e32 v1, s69
                                        ; implicit-def: $vgpr8_vgpr9
	s_waitcnt vmcnt(0)
	v_add_co_u32_e32 v0, vcc, s68, v2
	s_waitcnt vmcnt(0)
	v_addc_co_u32_e32 v10, vcc, v1, v3, vcc
	v_or_b32_e32 v24, s53, v10
	v_cmp_ne_u64_e32 vcc, 0, v[23:24]
	s_and_saveexec_b64 s[26:27], vcc
	s_xor_b64 s[40:41], exec, s[26:27]
	s_cbranch_execz .LBB6_50
; %bb.49:                               ;   in Loop: Header=BB6_47 Depth=1
	s_add_u32 s26, s52, s74
	s_mov_b32 s75, s74
	s_addc_u32 s27, s53, s74
	s_xor_b64 s[42:43], s[26:27], s[74:75]
	v_cvt_f32_u32_e32 v1, s42
	v_cvt_f32_u32_e32 v2, s43
	s_sub_u32 s75, 0, s42
	s_subb_u32 s76, 0, s43
	v_ashrrev_i32_e32 v4, 31, v10
	v_mac_f32_e32 v1, 0x4f800000, v2
	v_rcp_f32_e32 v1, v1
	v_add_co_u32_e32 v0, vcc, v0, v4
	v_xor_b32_e32 v5, v0, v4
	v_mul_f32_e32 v1, 0x5f7ffffc, v1
	v_mul_f32_e32 v2, 0x2f800000, v1
	v_trunc_f32_e32 v2, v2
	v_mac_f32_e32 v1, 0xcf800000, v2
	v_cvt_u32_f32_e32 v2, v2
	v_cvt_u32_f32_e32 v1, v1
	v_readfirstlane_b32 s77, v2
	v_readfirstlane_b32 s26, v1
	s_mul_i32 s27, s75, s77
	s_mul_hi_u32 s79, s75, s26
	s_mul_i32 s78, s76, s26
	s_add_i32 s27, s79, s27
	s_add_i32 s27, s27, s78
	s_mul_i32 s88, s75, s26
	s_mul_i32 s79, s26, s27
	s_mul_hi_u32 s89, s26, s88
	s_mul_hi_u32 s78, s26, s27
	s_add_u32 s79, s89, s79
	s_addc_u32 s78, 0, s78
	s_mul_hi_u32 s90, s77, s88
	s_mul_i32 s88, s77, s88
	s_add_u32 s79, s79, s88
	s_mul_hi_u32 s89, s77, s27
	s_addc_u32 s78, s78, s90
	s_addc_u32 s79, s89, 0
	s_mul_i32 s27, s77, s27
	s_add_u32 s27, s78, s27
	s_addc_u32 s78, 0, s79
	s_add_u32 s79, s26, s27
	s_cselect_b64 s[26:27], -1, 0
	s_cmp_lg_u64 s[26:27], 0
	s_addc_u32 s77, s77, s78
	s_mul_i32 s26, s75, s77
	s_mul_hi_u32 s27, s75, s79
	s_add_i32 s26, s27, s26
	s_mul_i32 s76, s76, s79
	s_add_i32 s26, s26, s76
	s_mul_i32 s75, s75, s79
	s_mul_hi_u32 s76, s77, s75
	s_mul_i32 s78, s77, s75
	s_mul_i32 s89, s79, s26
	s_mul_hi_u32 s75, s79, s75
	s_mul_hi_u32 s88, s79, s26
	s_add_u32 s75, s75, s89
	s_addc_u32 s88, 0, s88
	s_add_u32 s75, s75, s78
	s_mul_hi_u32 s27, s77, s26
	s_addc_u32 s75, s88, s76
	s_addc_u32 s27, s27, 0
	s_mul_i32 s26, s77, s26
	s_add_u32 s26, s75, s26
	s_addc_u32 s75, 0, s27
	s_add_u32 s76, s79, s26
	s_cselect_b64 s[26:27], -1, 0
	s_cmp_lg_u64 s[26:27], 0
	s_addc_u32 s75, s77, s75
	v_mad_u64_u32 v[0:1], s[26:27], v5, s75, 0
	v_mul_hi_u32 v3, v5, s76
	v_addc_co_u32_e32 v2, vcc, v10, v4, vcc
	v_xor_b32_e32 v6, v2, v4
	v_add_co_u32_e32 v7, vcc, v3, v0
	v_addc_co_u32_e32 v8, vcc, 0, v1, vcc
	v_mad_u64_u32 v[0:1], s[26:27], v6, s76, 0
	v_mad_u64_u32 v[2:3], s[26:27], v6, s75, 0
	v_add_co_u32_e32 v0, vcc, v7, v0
	v_addc_co_u32_e32 v0, vcc, v8, v1, vcc
	v_addc_co_u32_e32 v1, vcc, 0, v3, vcc
	v_add_co_u32_e32 v2, vcc, v0, v2
	v_addc_co_u32_e32 v3, vcc, 0, v1, vcc
	v_mul_lo_u32 v7, s43, v2
	v_mul_lo_u32 v8, s42, v3
	v_mad_u64_u32 v[0:1], s[26:27], s42, v2, 0
	v_add3_u32 v1, v1, v8, v7
	v_sub_u32_e32 v7, v6, v1
	v_mov_b32_e32 v8, s43
	v_sub_co_u32_e32 v0, vcc, v5, v0
	v_subb_co_u32_e64 v5, s[26:27], v7, v8, vcc
	v_subrev_co_u32_e64 v7, s[26:27], s42, v0
	v_subbrev_co_u32_e64 v5, s[26:27], 0, v5, s[26:27]
	v_cmp_le_u32_e64 s[26:27], s43, v5
	v_cndmask_b32_e64 v8, 0, -1, s[26:27]
	v_cmp_le_u32_e64 s[26:27], s42, v7
	v_cndmask_b32_e64 v7, 0, -1, s[26:27]
	v_cmp_eq_u32_e64 s[26:27], s43, v5
	v_cndmask_b32_e64 v5, v8, v7, s[26:27]
	v_add_co_u32_e64 v7, s[26:27], 2, v2
	v_subb_co_u32_e32 v1, vcc, v6, v1, vcc
	v_addc_co_u32_e64 v8, s[26:27], 0, v3, s[26:27]
	v_cmp_le_u32_e32 vcc, s43, v1
	v_add_co_u32_e64 v9, s[26:27], 1, v2
	v_cndmask_b32_e64 v6, 0, -1, vcc
	v_cmp_le_u32_e32 vcc, s42, v0
	v_addc_co_u32_e64 v10, s[26:27], 0, v3, s[26:27]
	v_cndmask_b32_e64 v0, 0, -1, vcc
	v_cmp_eq_u32_e32 vcc, s43, v1
	v_cmp_ne_u32_e64 s[26:27], 0, v5
	v_cndmask_b32_e32 v0, v6, v0, vcc
	v_cmp_ne_u32_e32 vcc, 0, v0
	v_cndmask_b32_e64 v1, v9, v7, s[26:27]
	v_cndmask_b32_e64 v5, v10, v8, s[26:27]
	v_cndmask_b32_e32 v1, v2, v1, vcc
	v_xor_b32_e32 v2, s74, v4
	v_cndmask_b32_e32 v0, v3, v5, vcc
	v_xor_b32_e32 v1, v1, v2
	v_xor_b32_e32 v0, v0, v2
	v_sub_co_u32_e32 v8, vcc, v1, v2
	v_subb_co_u32_e32 v9, vcc, v0, v2, vcc
                                        ; implicit-def: $vgpr0
.LBB6_50:                               ;   in Loop: Header=BB6_47 Depth=1
	s_andn2_saveexec_b64 s[40:41], s[40:41]
	s_cbranch_execz .LBB6_52
; %bb.51:                               ;   in Loop: Header=BB6_47 Depth=1
	v_cvt_f32_u32_e32 v1, s52
	s_sub_i32 s26, 0, s52
	v_mov_b32_e32 v9, v23
	v_rcp_iflag_f32_e32 v1, v1
	v_mul_f32_e32 v1, 0x4f7ffffe, v1
	v_cvt_u32_f32_e32 v1, v1
	v_mul_lo_u32 v2, s26, v1
	v_mul_hi_u32 v2, v1, v2
	v_add_u32_e32 v1, v1, v2
	v_mul_hi_u32 v1, v0, v1
	v_mul_lo_u32 v2, v1, s52
	v_sub_u32_e32 v0, v0, v2
	v_cmp_le_u32_e32 vcc, s52, v0
	v_subrev_u32_e32 v2, s52, v0
	v_cndmask_b32_e32 v0, v0, v2, vcc
	v_cmp_le_u32_e64 s[26:27], s52, v0
	v_add_u32_e32 v0, 1, v1
	v_cndmask_b32_e32 v0, v1, v0, vcc
	v_add_u32_e32 v1, 1, v0
	v_cndmask_b32_e64 v8, v0, v1, s[26:27]
.LBB6_52:                               ;   in Loop: Header=BB6_47 Depth=1
	s_or_b64 exec, exec, s[40:41]
	v_add_co_u32_e32 v0, vcc, 3, v8
	v_addc_co_u32_e32 v1, vcc, 0, v9, vcc
	v_and_b32_e32 v0, -4, v0
	buffer_store_dword v0, off, s[0:3], s33 offset:192 ; 4-byte Folded Spill
	s_nop 0
	buffer_store_dword v1, off, s[0:3], s33 offset:196 ; 4-byte Folded Spill
	buffer_load_dword v24, off, s[0:3], s33 offset:88 ; 4-byte Folded Reload
.LBB6_53:                               ;   in Loop: Header=BB6_47 Depth=1
	s_or_b64 exec, exec, s[28:29]
	buffer_load_dword v4, off, s[0:3], s33 offset:192 ; 4-byte Folded Reload
	buffer_load_dword v5, off, s[0:3], s33 offset:196 ; 4-byte Folded Reload
	v_mov_b32_e32 v6, v50
	v_mov_b32_e32 v7, v51
	;; [unrolled: 1-line block ×3, first 2 shown]
	s_waitcnt vmcnt(0)
	v_mul_lo_u32 v1, v4, s80
	s_waitcnt vmcnt(0)
	v_mul_lo_u32 v0, v5, s71
	v_mad_u64_u32 v[50:51], s[26:27], v4, s71, 0
	v_add3_u32 v51, v51, v1, v0
	buffer_load_dword v0, off, s[0:3], s33 offset:280 ; 4-byte Folded Reload
	buffer_load_dword v1, off, s[0:3], s33 offset:284 ; 4-byte Folded Reload
	buffer_load_dword v2, off, s[0:3], s33 offset:240 ; 4-byte Folded Reload
	buffer_load_dword v3, off, s[0:3], s33 offset:244 ; 4-byte Folded Reload
	s_waitcnt vmcnt(0)
	v_add_co_u32_e32 v0, vcc, v2, v0
	s_waitcnt vmcnt(0)
	v_addc_co_u32_e32 v1, vcc, v3, v1, vcc
	buffer_store_dword v0, off, s[0:3], s33 offset:112 ; 4-byte Folded Spill
	s_nop 0
	buffer_store_dword v1, off, s[0:3], s33 offset:116 ; 4-byte Folded Spill
	buffer_load_dword v0, off, s[0:3], s33 offset:184 ; 4-byte Folded Reload
	s_nop 0
	buffer_load_dword v1, off, s[0:3], s33 offset:188 ; 4-byte Folded Reload
	s_waitcnt vmcnt(0)
	v_sub_co_u32_e32 v0, vcc, v0, v50
	s_waitcnt vmcnt(0)
	v_subb_co_u32_e32 v1, vcc, v1, v51, vcc
	v_cmp_lt_i64_e32 vcc, v[4:5], v[0:1]
	v_cndmask_b32_e32 v1, v0, v4, vcc
	v_max_i32_e32 v21, 0, v1
	v_add_u32_e32 v2, 31, v21
	v_lshrrev_b32_e32 v2, 1, v2
	v_and_b32_e32 v2, 0x3ffffff0, v2
	v_cmp_lt_i32_e32 vcc, 0, v1
	v_mov_b32_e32 v0, 0
	v_max_i32_e32 v56, s81, v2
	s_and_b64 s[26:27], s[72:73], vcc
	s_and_saveexec_b64 s[28:29], s[26:27]
	s_cbranch_execz .LBB6_196
; %bb.54:                               ;   in Loop: Header=BB6_47 Depth=1
	v_lshlrev_b64 v[40:41], 2, v[50:51]
	v_mov_b32_e32 v4, v6
	s_mov_b32 s75, 1
	s_mov_b64 s[42:43], -1
	v_mov_b32_e32 v32, 0
	s_mov_b64 s[40:41], 0
	v_mov_b32_e32 v5, v7
	buffer_store_dword v40, off, s[0:3], s33 offset:212 ; 4-byte Folded Spill
	s_nop 0
	buffer_store_dword v41, off, s[0:3], s33 offset:216 ; 4-byte Folded Spill
	s_branch .LBB6_57
.LBB6_55:                               ;   in Loop: Header=BB6_57 Depth=2
	s_or_b64 exec, exec, s[76:77]
	s_waitcnt vmcnt(0)
	v_add_co_u32_e32 v4, vcc, 2, v4
	v_addc_co_u32_e32 v5, vcc, 0, v5, vcc
	flat_store_dwordx2 v[60:61], v[4:5]
.LBB6_56:                               ;   in Loop: Header=BB6_57 Depth=2
	s_or_b64 exec, exec, s[26:27]
	s_waitcnt vmcnt(0)
	v_add_u32_e32 v32, v56, v32
	v_cmp_ge_i32_e32 vcc, v32, v21
	s_xor_b64 s[26:27], s[42:43], -1
	s_or_b64 s[26:27], s[26:27], vcc
	s_and_b64 s[26:27], exec, s[26:27]
	s_or_b64 s[40:41], s[26:27], s[40:41]
	s_mov_b64 s[42:43], 0
	v_mov_b32_e32 v0, s75
	s_mov_b32 s75, 2
	s_andn2_b64 exec, exec, s[40:41]
	s_cbranch_execz .LBB6_195
.LBB6_57:                               ;   Parent Loop BB6_47 Depth=1
                                        ; =>  This Loop Header: Depth=2
                                        ;       Child Loop BB6_65 Depth 3
                                        ;       Child Loop BB6_89 Depth 3
	;; [unrolled: 1-line block ×9, first 2 shown]
	s_and_saveexec_b64 s[26:27], s[4:5]
	s_cbranch_execz .LBB6_59
; %bb.58:                               ;   in Loop: Header=BB6_57 Depth=2
	s_trap 2
	ds_read_b64 v[0:1], v0
	buffer_load_dword v2, off, s[0:3], s33 offset:112 ; 4-byte Folded Reload
	buffer_load_dword v3, off, s[0:3], s33 offset:116 ; 4-byte Folded Reload
	v_ashrrev_i32_e32 v33, 31, v32
	v_mov_b32_e32 v24, v23
	s_waitcnt vmcnt(0)
	v_lshlrev_b64 v[2:3], 2, v[2:3]
	s_waitcnt lgkmcnt(0)
	v_add_co_u32_e32 v0, vcc, v0, v2
	v_addc_co_u32_e32 v1, vcc, v1, v3, vcc
	v_add_co_u32_e32 v2, vcc, v0, v40
	v_addc_co_u32_e32 v3, vcc, v1, v41, vcc
	v_lshlrev_b64 v[0:1], 2, v[32:33]
	v_add_co_u32_e32 v0, vcc, v2, v0
	ds_write_b64 v0, v[23:24]
	buffer_load_dword v24, off, s[0:3], s33 offset:88 ; 4-byte Folded Reload
	v_addc_co_u32_e32 v1, vcc, v3, v1, vcc
	ds_write_b64 v0, v[0:1]
.LBB6_59:                               ;   in Loop: Header=BB6_57 Depth=2
	s_or_b64 exec, exec, s[26:27]
	v_sub_u32_e32 v0, v21, v32
	v_min_i32_e32 v56, v56, v0
	v_and_b32_e32 v0, 8, v62
	v_cmp_ne_u32_e32 vcc, 0, v0
	s_and_saveexec_b64 s[76:77], vcc
	s_cbranch_execz .LBB6_81
; %bb.60:                               ;   in Loop: Header=BB6_57 Depth=2
	s_waitcnt lgkmcnt(0)
	v_add_co_u32_e32 v0, vcc, 8, v26
	v_addc_co_u32_e32 v1, vcc, 0, v27, vcc
	v_add_co_u32_e32 v52, vcc, 2, v4
	v_addc_co_u32_e32 v53, vcc, 0, v5, vcc
	v_cmp_lt_u64_e32 vcc, v[0:1], v[52:53]
	s_and_saveexec_b64 s[78:79], vcc
	s_cbranch_execz .LBB6_72
; %bb.61:                               ;   in Loop: Header=BB6_57 Depth=2
	v_and_b32_e32 v0, 64, v62
	s_mov_b32 s50, 0
	v_cmp_eq_u32_e32 vcc, 0, v0
	s_mov_b64 s[88:89], 0
                                        ; implicit-def: $sgpr90_sgpr91
                                        ; implicit-def: $sgpr92_sgpr93
                                        ; implicit-def: $sgpr94_sgpr95
	s_branch .LBB6_65
.LBB6_62:                               ;   in Loop: Header=BB6_65 Depth=3
	s_waitcnt vmcnt(0) lgkmcnt(0)
	v_add_co_u32_e64 v1, s[26:27], 8, v26
	v_addc_co_u32_e64 v2, s[26:27], 0, v27, s[26:27]
	v_cmp_ge_u64_e64 s[26:27], v[1:2], v[52:53]
	s_or_b64 s[36:37], s[36:37], exec
	s_orn2_b64 s[34:35], s[26:27], exec
.LBB6_63:                               ;   in Loop: Header=BB6_65 Depth=3
	s_or_b64 exec, exec, s[48:49]
	s_andn2_b64 s[26:27], s[94:95], exec
	s_and_b64 s[94:95], s[36:37], exec
	s_or_b64 s[94:95], s[26:27], s[94:95]
	s_andn2_b64 s[26:27], s[92:93], exec
	s_and_b64 s[92:93], s[34:35], exec
	s_or_b64 s[92:93], s[26:27], s[92:93]
.LBB6_64:                               ;   in Loop: Header=BB6_65 Depth=3
	s_or_b64 exec, exec, s[30:31]
	s_and_b64 s[26:27], exec, s[92:93]
	s_or_b64 s[88:89], s[26:27], s[88:89]
	s_andn2_b64 s[26:27], s[90:91], exec
	s_and_b64 s[90:91], s[94:95], exec
	s_or_b64 s[90:91], s[26:27], s[90:91]
	s_andn2_b64 exec, exec, s[88:89]
	s_cbranch_execz .LBB6_69
.LBB6_65:                               ;   Parent Loop BB6_47 Depth=1
                                        ;     Parent Loop BB6_57 Depth=2
                                        ; =>    This Inner Loop Header: Depth=3
	s_sleep 1
	s_waitcnt vmcnt(0) lgkmcnt(0)
	flat_load_dwordx2 v[26:27], v[60:61] glc
	s_or_b64 s[94:95], s[94:95], exec
	s_or_b64 s[92:93], s[92:93], exec
                                        ; implicit-def: $vgpr0
	s_and_saveexec_b64 s[30:31], vcc
	s_cbranch_execz .LBB6_64
; %bb.66:                               ;   in Loop: Header=BB6_65 Depth=3
	s_cmpk_lt_i32 s50, 0x270f
	s_cselect_b64 s[38:39], -1, 0
	s_cmpk_gt_i32 s50, 0x270e
	s_mov_b64 s[34:35], -1
	s_cbranch_scc0 .LBB6_68
; %bb.67:                               ;   in Loop: Header=BB6_65 Depth=3
	s_trap 2
	ds_read_b64 v[0:1], v0
	s_andn2_b64 s[38:39], s[38:39], exec
	s_mov_b32 s50, 0
	s_mov_b64 s[36:37], 0
	s_waitcnt vmcnt(0) lgkmcnt(0)
	flat_load_dword v0, v[0:1] glc
	s_waitcnt vmcnt(0) lgkmcnt(0)
	buffer_wbinvl1_vol
	v_cmp_eq_u32_e64 s[26:27], 0, v0
	s_and_b64 s[26:27], s[26:27], exec
	s_or_b64 s[38:39], s[38:39], s[26:27]
	s_and_saveexec_b64 s[48:49], s[38:39]
	s_cbranch_execz .LBB6_63
	s_branch .LBB6_62
.LBB6_68:                               ;   in Loop: Header=BB6_65 Depth=3
	s_add_i32 s50, s50, 1
	s_mov_b64 s[36:37], -1
                                        ; implicit-def: $vgpr0
	s_and_saveexec_b64 s[48:49], s[38:39]
	s_cbranch_execz .LBB6_63
	s_branch .LBB6_62
.LBB6_69:                               ;   in Loop: Header=BB6_57 Depth=2
	s_or_b64 exec, exec, s[88:89]
	s_xor_b64 s[26:27], s[90:91], -1
	s_and_saveexec_b64 s[88:89], s[26:27]
	s_xor_b64 s[26:27], exec, s[88:89]
	s_cbranch_execz .LBB6_71
; %bb.70:                               ;   in Loop: Header=BB6_57 Depth=2
	v_or_b32_e32 v62, 64, v62
	s_waitcnt lgkmcnt(0)
	ds_write_b32 v0, v0
	s_trap 2
.LBB6_71:                               ;   in Loop: Header=BB6_57 Depth=2
	s_or_b64 exec, exec, s[26:27]
.LBB6_72:                               ;   in Loop: Header=BB6_57 Depth=2
	s_or_b64 exec, exec, s[78:79]
	v_and_b32_e32 v0, 0x100, v62
	v_cmp_ne_u32_e32 vcc, 0, v0
	v_and_b32_e32 v0, 7, v4
	s_mov_b64 s[26:27], -1
	;;#ASMSTART
	s_wakeup
	;;#ASMEND
                                        ; implicit-def: $vgpr36_vgpr37
	s_and_saveexec_b64 s[78:79], vcc
	s_cbranch_execz .LBB6_76
; %bb.73:                               ;   in Loop: Header=BB6_57 Depth=2
	v_mad_u64_u32 v[54:55], s[26:27], v0, 24, v[19:20]
	v_ashrrev_i32_e32 v57, 31, v56
	v_lshlrev_b64 v[1:2], 2, v[56:57]
                                        ; implicit-def: $vgpr36_vgpr37
	flat_store_dwordx2 v[54:55], v[1:2] offset:8
	flat_load_dword v1, v[54:55]
	s_waitcnt vmcnt(0) lgkmcnt(0)
	v_cmp_ne_u32_e32 vcc, 1, v1
	v_cmp_eq_u32_e64 s[26:27], 1, v1
	s_and_saveexec_b64 s[88:89], s[26:27]
	s_cbranch_execz .LBB6_75
; %bb.74:                               ;   in Loop: Header=BB6_57 Depth=2
	flat_load_dword v1, v[54:55] offset:4 glc
	s_waitcnt vmcnt(0) lgkmcnt(0)
	v_ashrrev_i32_e32 v2, 31, v1
	v_lshrrev_b64 v[36:37], 2, v[1:2]
.LBB6_75:                               ;   in Loop: Header=BB6_57 Depth=2
	s_or_b64 exec, exec, s[88:89]
	s_orn2_b64 s[26:27], vcc, exec
.LBB6_76:                               ;   in Loop: Header=BB6_57 Depth=2
	s_or_b64 exec, exec, s[78:79]
	s_and_saveexec_b64 s[78:79], s[26:27]
; %bb.77:                               ;   in Loop: Header=BB6_57 Depth=2
	v_mad_i64_i32 v[36:37], s[26:27], v0, v58, 0
; %bb.78:                               ;   in Loop: Header=BB6_57 Depth=2
	s_or_b64 exec, exec, s[78:79]
	v_lshlrev_b64 v[0:1], 2, v[36:37]
	v_add_co_u32_e32 v0, vcc, v28, v0
	v_addc_co_u32_e32 v1, vcc, v29, v1, vcc
	ds_write_b64 v0, v[0:1] offset:784
	v_and_b32_e32 v0, 0x2000, v62
	v_cmp_ne_u32_e32 vcc, 0, v0
	s_and_saveexec_b64 s[26:27], vcc
	s_cbranch_execz .LBB6_80
; %bb.79:                               ;   in Loop: Header=BB6_57 Depth=2
	ds_read_b64 v[0:1], v0 offset:872
	s_waitcnt lgkmcnt(0)
	v_add_co_u32_e32 v0, vcc, 1, v0
	v_addc_co_u32_e32 v1, vcc, 0, v1, vcc
	ds_write_b64 v0, v[0:1] offset:872
.LBB6_80:                               ;   in Loop: Header=BB6_57 Depth=2
	s_or_b64 exec, exec, s[26:27]
	v_mov_b32_e32 v4, v52
	v_mov_b32_e32 v5, v53
.LBB6_81:                               ;   in Loop: Header=BB6_57 Depth=2
	s_or_b64 exec, exec, s[76:77]
	s_and_saveexec_b64 s[26:27], s[10:11]
	s_cbranch_execz .LBB6_100
; %bb.82:                               ;   in Loop: Header=BB6_57 Depth=2
	s_and_saveexec_b64 s[76:77], s[56:57]
	s_xor_b64 s[76:77], exec, s[76:77]
	s_cbranch_execz .LBB6_97
; %bb.83:                               ;   in Loop: Header=BB6_57 Depth=2
	s_and_saveexec_b64 s[78:79], s[16:17]
	s_cbranch_execz .LBB6_96
; %bb.84:                               ;   in Loop: Header=BB6_57 Depth=2
	s_mov_b64 s[90:91], exec
	v_mbcnt_lo_u32_b32 v0, s90, 0
	v_mbcnt_hi_u32_b32 v0, s91, v0
	v_cmp_eq_u32_e32 vcc, 0, v0
	s_waitcnt vmcnt(0) lgkmcnt(0)
	buffer_wbinvl1_vol
	s_and_saveexec_b64 s[88:89], vcc
	s_cbranch_execz .LBB6_86
; %bb.85:                               ;   in Loop: Header=BB6_57 Depth=2
	s_bcnt1_i32_b64 s90, s[90:91]
	v_mov_b32_e32 v0, s90
	v_mov_b32_e32 v1, v23
	ds_add_u64 v0, v[0:1]
	s_trap 2
.LBB6_86:                               ;   in Loop: Header=BB6_57 Depth=2
	s_or_b64 exec, exec, s[88:89]
	s_trap 2
	ds_read_b64 v[0:1], v0
	s_waitcnt lgkmcnt(0)
	v_add_co_u32_e32 v12, vcc, v12, v49
	v_addc_co_u32_e32 v13, vcc, 0, v13, vcc
	v_cmp_lt_u64_e32 vcc, v[0:1], v[12:13]
	s_and_saveexec_b64 s[88:89], vcc
	s_cbranch_execz .LBB6_95
; %bb.87:                               ;   in Loop: Header=BB6_57 Depth=2
	s_mov_b32 s36, 0
	s_mov_b64 s[90:91], 0
                                        ; implicit-def: $sgpr92_sgpr93
                                        ; implicit-def: $sgpr94_sgpr95
	s_branch .LBB6_89
.LBB6_88:                               ;   in Loop: Header=BB6_89 Depth=3
	s_or_b64 exec, exec, s[34:35]
	s_and_b64 vcc, exec, vcc
	s_or_b64 s[90:91], vcc, s[90:91]
	s_andn2_b64 s[92:93], s[92:93], exec
	s_and_b64 vcc, s[94:95], exec
	s_or_b64 s[92:93], s[92:93], vcc
	s_andn2_b64 exec, exec, s[90:91]
	s_cbranch_execz .LBB6_93
.LBB6_89:                               ;   Parent Loop BB6_47 Depth=1
                                        ;     Parent Loop BB6_57 Depth=2
                                        ; =>    This Inner Loop Header: Depth=3
	s_add_i32 s36, s36, 1
	s_cmpk_lg_i32 s36, 0x2710
	s_cselect_b64 s[30:31], -1, 0
	s_and_b64 vcc, exec, s[30:31]
	s_cbranch_vccz .LBB6_91
; %bb.90:                               ;   in Loop: Header=BB6_89 Depth=3
	s_mov_b64 vcc, -1
	s_or_b64 s[94:95], s[94:95], exec
	s_and_saveexec_b64 s[34:35], s[30:31]
	s_cbranch_execz .LBB6_88
	s_branch .LBB6_92
.LBB6_91:                               ;   in Loop: Header=BB6_89 Depth=3
	s_trap 2
	ds_read_b64 v[0:1], v0
	s_andn2_b64 s[30:31], s[30:31], exec
	s_mov_b32 s36, 0
	s_waitcnt lgkmcnt(0)
	flat_load_dword v0, v[0:1] glc
	s_waitcnt vmcnt(0) lgkmcnt(0)
	buffer_wbinvl1_vol
	v_cmp_eq_u32_e32 vcc, 0, v0
	s_and_b64 vcc, vcc, exec
	s_or_b64 s[30:31], s[30:31], vcc
	s_mov_b64 vcc, -1
	s_or_b64 s[94:95], s[94:95], exec
	s_and_saveexec_b64 s[34:35], s[30:31]
	s_cbranch_execz .LBB6_88
.LBB6_92:                               ;   in Loop: Header=BB6_89 Depth=3
	s_sleep 1
	s_trap 2
	ds_read_b64 v[0:1], v0
	s_waitcnt lgkmcnt(0)
	s_andn2_b64 s[94:95], s[94:95], exec
	v_cmp_ge_u64_e32 vcc, v[0:1], v[12:13]
	s_orn2_b64 vcc, vcc, exec
	s_branch .LBB6_88
.LBB6_93:                               ;   in Loop: Header=BB6_57 Depth=2
	s_or_b64 exec, exec, s[90:91]
	s_and_saveexec_b64 s[90:91], s[92:93]
	s_xor_b64 s[90:91], exec, s[90:91]
	s_cbranch_execz .LBB6_95
; %bb.94:                               ;   in Loop: Header=BB6_57 Depth=2
	ds_write_b32 v0, v47
	s_trap 2
.LBB6_95:                               ;   in Loop: Header=BB6_57 Depth=2
	s_or_b64 exec, exec, s[88:89]
	;;#ASMSTART
	s_wakeup
	;;#ASMEND
.LBB6_96:                               ;   in Loop: Header=BB6_57 Depth=2
	s_or_b64 exec, exec, s[78:79]
.LBB6_97:                               ;   in Loop: Header=BB6_57 Depth=2
	s_andn2_saveexec_b64 s[76:77], s[76:77]
	s_cbranch_execz .LBB6_99
; %bb.98:                               ;   in Loop: Header=BB6_57 Depth=2
	s_waitcnt vmcnt(0) lgkmcnt(0)
	buffer_wbinvl1_vol
	s_barrier
.LBB6_99:                               ;   in Loop: Header=BB6_57 Depth=2
	s_or_b64 exec, exec, s[76:77]
.LBB6_100:                              ;   in Loop: Header=BB6_57 Depth=2
	s_or_b64 exec, exec, s[26:27]
	s_trap 2
	ds_read_b32 v0, v0
	v_and_b32_e32 v1, 0x4000, v62
	v_cmp_ne_u32_e32 vcc, 0, v1
	s_xor_b64 s[26:27], s[6:7], -1
	s_and_b64 s[76:77], s[26:27], vcc
	s_and_saveexec_b64 s[26:27], s[76:77]
	s_cbranch_execz .LBB6_119
; %bb.101:                              ;   in Loop: Header=BB6_57 Depth=2
	s_and_saveexec_b64 s[76:77], s[56:57]
	s_xor_b64 s[76:77], exec, s[76:77]
	s_cbranch_execz .LBB6_116
; %bb.102:                              ;   in Loop: Header=BB6_57 Depth=2
	s_and_saveexec_b64 s[78:79], s[16:17]
	s_cbranch_execz .LBB6_115
; %bb.103:                              ;   in Loop: Header=BB6_57 Depth=2
	s_mov_b64 s[90:91], exec
	v_mbcnt_lo_u32_b32 v1, s90, 0
	v_mbcnt_hi_u32_b32 v1, s91, v1
	v_cmp_eq_u32_e32 vcc, 0, v1
	s_waitcnt vmcnt(0) lgkmcnt(0)
	buffer_wbinvl1_vol
	s_and_saveexec_b64 s[88:89], vcc
	s_cbranch_execz .LBB6_105
; %bb.104:                              ;   in Loop: Header=BB6_57 Depth=2
	s_bcnt1_i32_b64 s90, s[90:91]
	v_mov_b32_e32 v1, s90
	v_mov_b32_e32 v2, v23
	ds_add_u64 v0, v[1:2]
	s_trap 2
.LBB6_105:                              ;   in Loop: Header=BB6_57 Depth=2
	s_or_b64 exec, exec, s[88:89]
	s_trap 2
	ds_read_b64 v[1:2], v0
	s_waitcnt lgkmcnt(0)
	v_add_co_u32_e32 v12, vcc, v12, v49
	v_addc_co_u32_e32 v13, vcc, 0, v13, vcc
	v_cmp_lt_u64_e32 vcc, v[1:2], v[12:13]
	s_and_saveexec_b64 s[88:89], vcc
	s_cbranch_execz .LBB6_114
; %bb.106:                              ;   in Loop: Header=BB6_57 Depth=2
	s_mov_b32 s36, 0
	s_mov_b64 s[90:91], 0
                                        ; implicit-def: $sgpr92_sgpr93
                                        ; implicit-def: $sgpr94_sgpr95
	s_branch .LBB6_108
.LBB6_107:                              ;   in Loop: Header=BB6_108 Depth=3
	s_or_b64 exec, exec, s[34:35]
	s_and_b64 vcc, exec, vcc
	s_or_b64 s[90:91], vcc, s[90:91]
	s_andn2_b64 s[92:93], s[92:93], exec
	s_and_b64 vcc, s[94:95], exec
	s_or_b64 s[92:93], s[92:93], vcc
	s_andn2_b64 exec, exec, s[90:91]
	s_cbranch_execz .LBB6_112
.LBB6_108:                              ;   Parent Loop BB6_47 Depth=1
                                        ;     Parent Loop BB6_57 Depth=2
                                        ; =>    This Inner Loop Header: Depth=3
	s_add_i32 s36, s36, 1
	s_cmpk_lg_i32 s36, 0x2710
	s_cselect_b64 s[30:31], -1, 0
	s_and_b64 vcc, exec, s[30:31]
	s_cbranch_vccz .LBB6_110
; %bb.109:                              ;   in Loop: Header=BB6_108 Depth=3
	s_mov_b64 vcc, -1
	s_or_b64 s[94:95], s[94:95], exec
	s_and_saveexec_b64 s[34:35], s[30:31]
	s_cbranch_execz .LBB6_107
	s_branch .LBB6_111
.LBB6_110:                              ;   in Loop: Header=BB6_108 Depth=3
	s_trap 2
	ds_read_b64 v[1:2], v0
	s_andn2_b64 s[30:31], s[30:31], exec
	s_mov_b32 s36, 0
	s_waitcnt lgkmcnt(0)
	flat_load_dword v1, v[1:2] glc
	s_waitcnt vmcnt(0) lgkmcnt(0)
	buffer_wbinvl1_vol
	v_cmp_eq_u32_e32 vcc, 0, v1
	s_and_b64 vcc, vcc, exec
	s_or_b64 s[30:31], s[30:31], vcc
	s_mov_b64 vcc, -1
	s_or_b64 s[94:95], s[94:95], exec
	s_and_saveexec_b64 s[34:35], s[30:31]
	s_cbranch_execz .LBB6_107
.LBB6_111:                              ;   in Loop: Header=BB6_108 Depth=3
	s_sleep 1
	s_trap 2
	ds_read_b64 v[1:2], v0
	s_waitcnt lgkmcnt(0)
	s_andn2_b64 s[94:95], s[94:95], exec
	v_cmp_ge_u64_e32 vcc, v[1:2], v[12:13]
	s_orn2_b64 vcc, vcc, exec
	s_branch .LBB6_107
.LBB6_112:                              ;   in Loop: Header=BB6_57 Depth=2
	s_or_b64 exec, exec, s[90:91]
	s_and_saveexec_b64 s[90:91], s[92:93]
	s_xor_b64 s[90:91], exec, s[90:91]
	s_cbranch_execz .LBB6_114
; %bb.113:                              ;   in Loop: Header=BB6_57 Depth=2
	ds_write_b32 v0, v47
	s_trap 2
.LBB6_114:                              ;   in Loop: Header=BB6_57 Depth=2
	s_or_b64 exec, exec, s[88:89]
	;;#ASMSTART
	s_wakeup
	;;#ASMEND
.LBB6_115:                              ;   in Loop: Header=BB6_57 Depth=2
	s_or_b64 exec, exec, s[78:79]
.LBB6_116:                              ;   in Loop: Header=BB6_57 Depth=2
	s_andn2_saveexec_b64 s[76:77], s[76:77]
	s_cbranch_execz .LBB6_118
; %bb.117:                              ;   in Loop: Header=BB6_57 Depth=2
	s_waitcnt vmcnt(0) lgkmcnt(0)
	buffer_wbinvl1_vol
	s_barrier
.LBB6_118:                              ;   in Loop: Header=BB6_57 Depth=2
	s_or_b64 exec, exec, s[76:77]
.LBB6_119:                              ;   in Loop: Header=BB6_57 Depth=2
	s_or_b64 exec, exec, s[26:27]
	s_trap 2
	s_waitcnt lgkmcnt(0)
	ds_read_b64 v[52:53], v0
	s_waitcnt lgkmcnt(0)
	v_cmp_eq_u64_e32 vcc, 0, v[52:53]
	s_cbranch_vccnz .LBB6_127
; %bb.120:                              ;   in Loop: Header=BB6_57 Depth=2
	buffer_store_dword v4, off, s[0:3], s33 offset:120 ; 4-byte Folded Spill
	s_nop 0
	buffer_store_dword v5, off, s[0:3], s33 offset:124 ; 4-byte Folded Spill
	s_trap 2
	ds_read_b64 v[50:51], v0
	s_waitcnt lgkmcnt(0)
	v_cmp_eq_u64_e32 vcc, 0, v[50:51]
	s_cbranch_vccnz .LBB6_133
; %bb.121:                              ;   in Loop: Header=BB6_57 Depth=2
	s_mov_b64 s[26:27], -1
	s_and_saveexec_b64 s[76:77], s[18:19]
	s_cbranch_execz .LBB6_123
; %bb.122:                              ;   in Loop: Header=BB6_57 Depth=2
	ds_read_b32 v1, v0 offset:720
	s_waitcnt lgkmcnt(0)
	v_and_b32_e32 v1, 15, v1
	v_cmp_eq_u32_e32 vcc, 0, v1
	s_orn2_b64 s[26:27], vcc, exec
.LBB6_123:                              ;   in Loop: Header=BB6_57 Depth=2
	s_or_b64 exec, exec, s[76:77]
	s_and_saveexec_b64 s[76:77], s[20:21]
	s_cbranch_execz .LBB6_125
; %bb.124:                              ;   in Loop: Header=BB6_57 Depth=2
	ds_read_b32 v1, v0 offset:784
	s_waitcnt lgkmcnt(0)
	v_and_b32_e32 v1, 15, v1
	v_cmp_eq_u32_e32 vcc, 0, v1
	s_and_b64 s[78:79], s[26:27], vcc
	s_andn2_b64 s[26:27], s[26:27], exec
	s_and_b64 s[78:79], s[78:79], exec
	s_or_b64 s[26:27], s[26:27], s[78:79]
.LBB6_125:                              ;   in Loop: Header=BB6_57 Depth=2
	s_or_b64 exec, exec, s[76:77]
	v_cmp_eq_u32_e32 vcc, 0, v0
	s_xor_b64 s[26:27], s[26:27], -1
	v_cndmask_b32_e32 v33, 0, v56, vcc
	v_cndmask_b32_e64 v0, 0, 1, s[26:27]
	v_lshlrev_b32_e32 v44, 2, v33
	s_mov_b64 s[78:79], -1
	v_cmp_ne_u32_e32 vcc, 0, v0
	v_mov_b32_e32 v9, 0
	s_cbranch_vccz .LBB6_134
; %bb.126:                              ;   in Loop: Header=BB6_57 Depth=2
	buffer_load_dword v11, off, s[0:3], s33 offset:220 ; 4-byte Folded Reload
	buffer_load_dword v35, off, s[0:3], s33 offset:80 ; 4-byte Folded Reload
	s_and_saveexec_b64 s[26:27], s[78:79]
	s_cbranch_execnz .LBB6_147
	s_branch .LBB6_155
.LBB6_127:                              ;   in Loop: Header=BB6_57 Depth=2
	s_mov_b64 s[26:27], 0
	s_and_saveexec_b64 s[76:77], s[10:11]
	s_cbranch_execnz .LBB6_156
.LBB6_128:                              ;   in Loop: Header=BB6_57 Depth=2
	s_or_b64 exec, exec, s[76:77]
                                        ; implicit-def: $vgpr0
	s_and_saveexec_b64 s[76:77], s[24:25]
	s_xor_b64 s[76:77], exec, s[76:77]
	s_cbranch_execz .LBB6_174
.LBB6_129:                              ;   in Loop: Header=BB6_57 Depth=2
	v_and_b32_e32 v1, 16, v62
	v_cmp_ne_u32_e32 vcc, 0, v1
	v_and_b32_e32 v0, 16, v62
	s_and_b64 s[78:79], vcc, s[26:27]
	s_and_saveexec_b64 s[26:27], s[78:79]
	s_cbranch_execz .LBB6_131
; %bb.130:                              ;   in Loop: Header=BB6_57 Depth=2
	v_mov_b32_e32 v0, 1
	s_waitcnt vmcnt(0) lgkmcnt(0)
	buffer_wbinvl1_vol
.LBB6_131:                              ;   in Loop: Header=BB6_57 Depth=2
	s_or_b64 exec, exec, s[26:27]
	s_andn2_saveexec_b64 s[26:27], s[76:77]
	s_cbranch_execnz .LBB6_175
.LBB6_132:                              ;   in Loop: Header=BB6_57 Depth=2
	s_or_b64 exec, exec, s[26:27]
	v_cmp_ne_u32_e32 vcc, 0, v0
	s_and_saveexec_b64 s[26:27], vcc
	s_cbranch_execz .LBB6_56
	s_branch .LBB6_193
.LBB6_133:                              ;   in Loop: Header=BB6_57 Depth=2
	s_mov_b64 s[26:27], 0
	buffer_load_dword v4, off, s[0:3], s33 offset:120 ; 4-byte Folded Reload
	buffer_load_dword v5, off, s[0:3], s33 offset:124 ; 4-byte Folded Reload
	s_and_saveexec_b64 s[76:77], s[10:11]
	s_cbranch_execz .LBB6_128
	s_branch .LBB6_156
.LBB6_134:                              ;   in Loop: Header=BB6_57 Depth=2
	v_ashrrev_i32_e32 v0, 31, v44
	v_lshrrev_b32_e32 v0, 19, v0
	v_add_u32_e32 v0, v44, v0
	v_ashrrev_i32_e32 v35, 13, v0
	buffer_load_dword v0, off, s[0:3], s33 offset:80 ; 4-byte Folded Reload
	s_waitcnt vmcnt(0)
	v_sub_u32_e32 v34, v35, v0
	v_cmp_lt_i32_e32 vcc, 0, v34
	s_and_saveexec_b64 s[76:77], vcc
	s_cbranch_execz .LBB6_138
; %bb.135:                              ;   in Loop: Header=BB6_57 Depth=2
	v_mov_b32_e32 v40, v50
	v_mov_b32_e32 v38, v43
	;; [unrolled: 1-line block ×5, first 2 shown]
	s_mov_b64 s[78:79], 0
	v_mov_b32_e32 v41, v51
	v_mov_b32_e32 v43, v53
	;; [unrolled: 1-line block ×3, first 2 shown]
	buffer_store_dword v56, off, s[0:3], s33 offset:224 ; 4-byte Folded Spill
	s_nop 0
	buffer_store_dword v57, off, s[0:3], s33 offset:228 ; 4-byte Folded Spill
.LBB6_136:                              ;   Parent Loop BB6_47 Depth=1
                                        ;     Parent Loop BB6_57 Depth=2
                                        ; =>    This Inner Loop Header: Depth=3
	v_add_co_u32_e32 v0, vcc, v38, v42
	s_waitcnt vmcnt(7)
	v_addc_co_u32_e32 v1, vcc, v48, v43, vcc
	v_add_co_u32_e32 v18, vcc, s64, v0
	v_addc_co_u32_e32 v19, vcc, 0, v1, vcc
	global_load_dwordx4 v[45:48], v[0:1], off glc slc
	global_load_dwordx4 v[28:31], v[0:1], off offset:1024 glc slc
	global_load_dwordx4 v[4:7], v[0:1], off offset:2048 glc slc
	;; [unrolled: 1-line block ×3, first 2 shown]
	global_load_dwordx4 v[22:25], v[18:19], off glc slc
	s_nop 0
	global_load_dwordx4 v[0:3], v[18:19], off offset:1024 glc slc
	global_load_dwordx4 v[8:11], v[18:19], off offset:2048 glc slc
	;; [unrolled: 1-line block ×3, first 2 shown]
	v_add_co_u32_e32 v18, vcc, v38, v40
	buffer_load_dword v19, off, s[0:3], s33 offset:92 ; 4-byte Folded Reload
	v_sub_u32_e32 v34, v34, v49
	v_cmp_gt_i32_e64 s[26:27], 1, v34
	s_or_b64 s[78:79], s[26:27], s[78:79]
	s_waitcnt vmcnt(0)
	v_addc_co_u32_e32 v19, vcc, v19, v41, vcc
	global_store_dwordx4 v[18:19], v[45:48], off glc slc
	buffer_load_dword v48, off, s[0:3], s33 offset:92 ; 4-byte Folded Reload
	v_add_co_u32_e32 v42, vcc, v42, v37
	v_addc_co_u32_e32 v43, vcc, 0, v43, vcc
	v_add_co_u32_e32 v40, vcc, v40, v37
	v_addc_co_u32_e32 v41, vcc, 0, v41, vcc
	;; [unrolled: 2-line block ×3, first 2 shown]
	global_store_dwordx4 v[18:19], v[28:31], off offset:1024 glc slc
	global_store_dwordx4 v[18:19], v[4:7], off offset:2048 glc slc
	;; [unrolled: 1-line block ×3, first 2 shown]
	global_store_dwordx4 v[20:21], v[22:25], off glc slc
	global_store_dwordx4 v[20:21], v[0:3], off offset:1024 glc slc
	global_store_dwordx4 v[20:21], v[8:11], off offset:2048 glc slc
	;; [unrolled: 1-line block ×3, first 2 shown]
	s_andn2_b64 exec, exec, s[78:79]
	s_cbranch_execnz .LBB6_136
; %bb.137:                              ;   in Loop: Header=BB6_57 Depth=2
	s_or_b64 exec, exec, s[78:79]
	buffer_load_dword v19, off, s[0:3], s33 offset:144 ; 4-byte Folded Reload
	buffer_load_dword v20, off, s[0:3], s33 offset:148 ; 4-byte Folded Reload
	;; [unrolled: 1-line block ×18, first 2 shown]
	v_mov_b32_e32 v23, v36
	v_mov_b32_e32 v47, 1
	;; [unrolled: 1-line block ×4, first 2 shown]
	s_waitcnt vmcnt(15)
	v_mov_b32_e32 v21, v39
.LBB6_138:                              ;   in Loop: Header=BB6_57 Depth=2
	s_or_b64 exec, exec, s[76:77]
	v_lshlrev_b32_e32 v14, 13, v35
	v_cmp_ne_u32_e32 vcc, v44, v14
	s_mov_b64 s[78:79], 0
	v_mov_b32_e32 v9, 0
                                        ; implicit-def: $vgpr11
                                        ; implicit-def: $vgpr35
	s_and_saveexec_b64 s[76:77], vcc
	s_cbranch_execz .LBB6_146
; %bb.139:                              ;   in Loop: Header=BB6_57 Depth=2
	buffer_load_dword v2, off, s[0:3], s33 offset:180 ; 4-byte Folded Reload
	v_lshlrev_b32_e32 v1, 6, v34
	v_sub_u32_e32 v0, v44, v14
	s_waitcnt vmcnt(0)
	v_sub_u32_e32 v1, v2, v1
	v_ashrrev_i32_e32 v2, 31, v1
	v_lshrrev_b32_e32 v2, 26, v2
	v_add_u32_e32 v2, v1, v2
	v_ashrrev_i32_e32 v3, 6, v2
	v_and_b32_e32 v2, 0xffffffc0, v2
	v_sub_u32_e32 v34, v1, v2
	v_lshlrev_b32_e32 v1, 4, v34
	v_lshl_add_u32 v11, v3, 10, v1
	v_ashrrev_i32_e32 v1, 31, v0
	v_lshrrev_b32_e32 v1, 22, v1
	v_add_u32_e32 v1, v0, v1
	v_and_b32_e32 v38, 0xfffffc00, v1
	v_sub_u32_e32 v48, v0, v38
	v_ashrrev_i32_e32 v2, 10, v1
	v_cmp_lt_i32_e32 vcc, 15, v48
	v_sub_u32_e32 v9, v0, v11
	v_addc_co_u32_e64 v0, s[26:27], 0, v2, vcc
	v_sub_u32_e32 v39, v0, v3
	v_cmp_lt_i32_e64 s[26:27], 15, v9
	s_and_saveexec_b64 s[78:79], s[26:27]
	s_cbranch_execz .LBB6_143
; %bb.140:                              ;   in Loop: Header=BB6_57 Depth=2
	v_add_u32_e32 v11, v11, v14
	v_ashrrev_i32_e32 v35, 31, v11
	s_mov_b64 s[88:89], 0
.LBB6_141:                              ;   Parent Loop BB6_47 Depth=1
                                        ;     Parent Loop BB6_57 Depth=2
                                        ; =>    This Inner Loop Header: Depth=3
	v_add_co_u32_e64 v0, s[26:27], v52, v11
	v_addc_co_u32_e64 v1, s[26:27], v53, v35, s[26:27]
	global_load_dwordx4 v[0:3], v[0:1], off glc slc
	v_add_co_u32_e64 v4, s[26:27], v50, v11
	v_addc_co_u32_e64 v5, s[26:27], v51, v35, s[26:27]
	v_add_co_u32_e64 v11, s[26:27], v11, v24
	v_sub_u32_e32 v9, v9, v24
	v_addc_co_u32_e64 v35, s[26:27], 0, v35, s[26:27]
	v_cmp_gt_i32_e64 s[26:27], 16, v9
	v_sub_u32_e32 v39, v39, v49
	s_or_b64 s[88:89], s[26:27], s[88:89]
	s_waitcnt vmcnt(0)
	global_store_dwordx4 v[4:5], v[0:3], off glc slc
	s_andn2_b64 exec, exec, s[88:89]
	s_cbranch_execnz .LBB6_141
; %bb.142:                              ;   in Loop: Header=BB6_57 Depth=2
	s_or_b64 exec, exec, s[88:89]
.LBB6_143:                              ;   in Loop: Header=BB6_57 Depth=2
	s_or_b64 exec, exec, s[78:79]
	v_and_b32_e32 v49, 12, v44
	v_cndmask_b32_e32 v44, v48, v49, vcc
	v_mov_b32_e32 v9, 0
	v_cmp_ne_u32_e64 s[26:27], 0, v44
	s_mov_b64 s[88:89], 0
                                        ; implicit-def: $vgpr11
                                        ; implicit-def: $vgpr35
	s_and_saveexec_b64 s[78:79], s[26:27]
	s_cbranch_execz .LBB6_145
; %bb.144:                              ;   in Loop: Header=BB6_57 Depth=2
	v_sub_u32_e32 v0, v48, v49
	v_cndmask_b32_e32 v0, 0, v0, vcc
	v_add3_u32 v9, v38, v14, v0
	buffer_load_dword v0, off, s[0:3], s33 offset:84 ; 4-byte Folded Reload
	v_cmp_lt_i32_e32 vcc, 0, v39
	s_mov_b64 s[88:89], exec
	s_waitcnt vmcnt(0)
	v_cndmask_b32_e32 v0, 0, v0, vcc
	v_sub_u32_e32 v0, v0, v39
	v_lshl_add_u32 v11, v0, 6, v34
	v_ashrrev_i32_e32 v0, 31, v11
	v_lshrrev_b32_e32 v0, 26, v0
	v_add_u32_e32 v0, v11, v0
	v_ashrrev_i32_e32 v35, 6, v0
.LBB6_145:                              ;   in Loop: Header=BB6_57 Depth=2
	s_or_b64 exec, exec, s[78:79]
	buffer_load_dword v49, off, s[0:3], s33 offset:84 ; 4-byte Folded Reload
	buffer_load_dword v18, off, s[0:3], s33 offset:128 ; 4-byte Folded Reload
	buffer_load_dword v48, off, s[0:3], s33 offset:92 ; 4-byte Folded Reload
	s_and_b64 s[78:79], s[88:89], exec
.LBB6_146:                              ;   in Loop: Header=BB6_57 Depth=2
	s_or_b64 exec, exec, s[76:77]
	s_and_saveexec_b64 s[26:27], s[78:79]
	s_cbranch_execz .LBB6_155
.LBB6_147:                              ;   in Loop: Header=BB6_57 Depth=2
	v_ashrrev_i32_e32 v0, 31, v44
	v_lshrrev_b32_e32 v0, 21, v0
	v_add_u32_e32 v0, v44, v0
	v_ashrrev_i32_e32 v38, 11, v0
	s_waitcnt vmcnt(0)
	v_sub_u32_e32 v14, v38, v35
	v_ashrrev_i32_e32 v0, 31, v11
	v_cmp_lt_i32_e32 vcc, 0, v14
	v_lshrrev_b32_e32 v34, 26, v0
	s_and_saveexec_b64 s[76:77], vcc
	s_cbranch_execz .LBB6_151
; %bb.148:                              ;   in Loop: Header=BB6_57 Depth=2
	buffer_load_dword v15, off, s[0:3], s33 offset:160 ; 4-byte Folded Reload
	v_add_u32_e32 v0, v11, v34
	v_and_b32_e32 v0, 0x3fffffc0, v0
	v_sub_u32_e32 v0, v11, v0
	v_lshlrev_b32_e32 v0, 2, v0
	v_lshlrev_b32_e32 v1, 11, v35
	v_add3_u32 v35, v0, v9, v1
	v_mov_b32_e32 v40, v50
	v_mov_b32_e32 v42, v52
	v_ashrrev_i32_e32 v39, 31, v35
	s_mov_b64 s[78:79], 0
	v_mov_b32_e32 v41, v51
	v_mov_b32_e32 v43, v53
.LBB6_149:                              ;   Parent Loop BB6_47 Depth=1
                                        ;     Parent Loop BB6_57 Depth=2
                                        ; =>    This Inner Loop Header: Depth=3
	v_add_co_u32_e32 v0, vcc, v35, v42
	v_addc_co_u32_e32 v1, vcc, v39, v43, vcc
	flat_load_dword v2, v[0:1] glc slc
	flat_load_dword v3, v[0:1] offset:256 glc slc
	flat_load_dword v4, v[0:1] offset:512 glc slc
	;; [unrolled: 1-line block ×7, first 2 shown]
	v_add_co_u32_e32 v0, vcc, v35, v40
	v_addc_co_u32_e32 v1, vcc, v39, v41, vcc
	s_waitcnt vmcnt(0)
	v_add_co_u32_e32 v42, vcc, v42, v15
	v_addc_co_u32_e32 v43, vcc, 0, v43, vcc
	v_add_co_u32_e32 v40, vcc, v40, v15
	v_sub_u32_e32 v14, v14, v49
	v_addc_co_u32_e32 v41, vcc, 0, v41, vcc
	v_cmp_gt_i32_e32 vcc, 1, v14
	s_or_b64 s[78:79], vcc, s[78:79]
	s_waitcnt lgkmcnt(0)
	flat_store_dword v[0:1], v2 glc slc
	flat_store_dword v[0:1], v3 offset:256 glc slc
	flat_store_dword v[0:1], v4 offset:512 glc slc
	;; [unrolled: 1-line block ×7, first 2 shown]
	s_andn2_b64 exec, exec, s[78:79]
	s_cbranch_execnz .LBB6_149
; %bb.150:                              ;   in Loop: Header=BB6_57 Depth=2
	s_or_b64 exec, exec, s[78:79]
	buffer_load_dword v43, off, s[0:3], s33 offset:60 ; 4-byte Folded Reload
	buffer_load_dword v40, off, s[0:3], s33 offset:212 ; 4-byte Folded Reload
	;; [unrolled: 1-line block ×3, first 2 shown]
.LBB6_151:                              ;   in Loop: Header=BB6_57 Depth=2
	s_or_b64 exec, exec, s[76:77]
	v_lshlrev_b32_e32 v35, 11, v38
	v_cmp_ne_u32_e32 vcc, v44, v35
	s_and_b64 exec, exec, vcc
	s_cbranch_execz .LBB6_155
; %bb.152:                              ;   in Loop: Header=BB6_57 Depth=2
	v_add_u32_e32 v0, v11, v34
	v_and_b32_e32 v0, 0xffffffc0, v0
	v_sub_u32_e32 v0, v11, v0
	v_lshlrev_b32_e32 v1, 6, v14
	v_sub_u32_e32 v0, v0, v1
	v_ashrrev_i32_e32 v1, 31, v0
	v_lshrrev_b32_e32 v1, 26, v1
	v_add_u32_e32 v1, v0, v1
	v_and_b32_e32 v2, 0x3fffffc0, v1
	v_sub_u32_e32 v0, v0, v2
	v_lshlrev_b32_e32 v1, 2, v1
	v_and_b32_e32 v1, 0xffffff00, v1
	v_lshlrev_b32_e32 v0, 2, v0
	v_add3_u32 v11, v1, v0, v35
	v_sub_u32_e32 v3, v44, v11
	v_cmp_lt_i32_e32 vcc, 3, v3
	s_and_b64 exec, exec, vcc
	s_cbranch_execz .LBB6_155
; %bb.153:                              ;   in Loop: Header=BB6_57 Depth=2
	v_add_u32_e32 v9, v11, v9
	v_ashrrev_i32_e32 v11, 31, v9
	s_mov_b64 s[76:77], 0
.LBB6_154:                              ;   Parent Loop BB6_47 Depth=1
                                        ;     Parent Loop BB6_57 Depth=2
                                        ; =>    This Inner Loop Header: Depth=3
	v_add_co_u32_e32 v0, vcc, v52, v9
	v_addc_co_u32_e32 v1, vcc, v53, v11, vcc
	flat_load_dword v2, v[0:1] glc slc
	v_add_co_u32_e32 v0, vcc, v50, v9
	v_addc_co_u32_e32 v1, vcc, v51, v11, vcc
	v_add_co_u32_e32 v9, vcc, v9, v16
	v_sub_u32_e32 v3, v3, v16
	v_addc_co_u32_e32 v11, vcc, 0, v11, vcc
	v_cmp_gt_i32_e32 vcc, 4, v3
	s_or_b64 s[76:77], vcc, s[76:77]
	s_waitcnt vmcnt(0) lgkmcnt(0)
	flat_store_dword v[0:1], v2 glc slc
	s_andn2_b64 exec, exec, s[76:77]
	s_cbranch_execnz .LBB6_154
.LBB6_155:                              ;   in Loop: Header=BB6_57 Depth=2
	s_or_b64 exec, exec, s[26:27]
	v_cmp_lt_i32_e64 s[26:27], 0, v33
	buffer_load_dword v4, off, s[0:3], s33 offset:120 ; 4-byte Folded Reload
	buffer_load_dword v5, off, s[0:3], s33 offset:124 ; 4-byte Folded Reload
	s_and_saveexec_b64 s[76:77], s[10:11]
	s_cbranch_execz .LBB6_128
.LBB6_156:                              ;   in Loop: Header=BB6_57 Depth=2
	s_and_saveexec_b64 s[78:79], s[56:57]
	s_xor_b64 s[78:79], exec, s[78:79]
	s_cbranch_execz .LBB6_171
; %bb.157:                              ;   in Loop: Header=BB6_57 Depth=2
	s_and_saveexec_b64 s[88:89], s[16:17]
	s_cbranch_execz .LBB6_170
; %bb.158:                              ;   in Loop: Header=BB6_57 Depth=2
	s_mov_b64 s[92:93], exec
	v_mbcnt_lo_u32_b32 v0, s92, 0
	v_mbcnt_hi_u32_b32 v0, s93, v0
	v_cmp_eq_u32_e32 vcc, 0, v0
	s_waitcnt vmcnt(0) lgkmcnt(0)
	buffer_wbinvl1_vol
	s_and_saveexec_b64 s[90:91], vcc
	s_cbranch_execz .LBB6_160
; %bb.159:                              ;   in Loop: Header=BB6_57 Depth=2
	s_bcnt1_i32_b64 s92, s[92:93]
	v_mov_b32_e32 v0, s92
	v_mov_b32_e32 v1, v23
	ds_add_u64 v0, v[0:1]
	s_trap 2
.LBB6_160:                              ;   in Loop: Header=BB6_57 Depth=2
	s_or_b64 exec, exec, s[90:91]
	s_trap 2
	ds_read_b64 v[0:1], v0
	s_waitcnt lgkmcnt(0)
	v_add_co_u32_e32 v12, vcc, v12, v49
	v_addc_co_u32_e32 v13, vcc, 0, v13, vcc
	v_cmp_lt_u64_e32 vcc, v[0:1], v[12:13]
	s_and_saveexec_b64 s[90:91], vcc
	s_cbranch_execz .LBB6_169
; %bb.161:                              ;   in Loop: Header=BB6_57 Depth=2
	s_mov_b32 s38, 0
	s_mov_b64 s[92:93], 0
                                        ; implicit-def: $sgpr94_sgpr95
                                        ; implicit-def: $sgpr30_sgpr31
	s_branch .LBB6_163
.LBB6_162:                              ;   in Loop: Header=BB6_163 Depth=3
	s_or_b64 exec, exec, s[36:37]
	s_and_b64 vcc, exec, vcc
	s_or_b64 s[92:93], vcc, s[92:93]
	s_andn2_b64 s[94:95], s[94:95], exec
	s_and_b64 vcc, s[30:31], exec
	s_or_b64 s[94:95], s[94:95], vcc
	s_andn2_b64 exec, exec, s[92:93]
	s_cbranch_execz .LBB6_167
.LBB6_163:                              ;   Parent Loop BB6_47 Depth=1
                                        ;     Parent Loop BB6_57 Depth=2
                                        ; =>    This Inner Loop Header: Depth=3
	s_add_i32 s38, s38, 1
	s_cmpk_lg_i32 s38, 0x2710
	s_cselect_b64 s[34:35], -1, 0
	s_and_b64 vcc, exec, s[34:35]
	s_cbranch_vccz .LBB6_165
; %bb.164:                              ;   in Loop: Header=BB6_163 Depth=3
	s_mov_b64 vcc, -1
	s_or_b64 s[30:31], s[30:31], exec
	s_and_saveexec_b64 s[36:37], s[34:35]
	s_cbranch_execz .LBB6_162
	s_branch .LBB6_166
.LBB6_165:                              ;   in Loop: Header=BB6_163 Depth=3
	s_trap 2
	ds_read_b64 v[0:1], v0
	s_andn2_b64 s[34:35], s[34:35], exec
	s_mov_b32 s38, 0
	s_waitcnt lgkmcnt(0)
	flat_load_dword v0, v[0:1] glc
	s_waitcnt vmcnt(0) lgkmcnt(0)
	buffer_wbinvl1_vol
	v_cmp_eq_u32_e32 vcc, 0, v0
	s_and_b64 vcc, vcc, exec
	s_or_b64 s[34:35], s[34:35], vcc
	s_mov_b64 vcc, -1
	s_or_b64 s[30:31], s[30:31], exec
	s_and_saveexec_b64 s[36:37], s[34:35]
	s_cbranch_execz .LBB6_162
.LBB6_166:                              ;   in Loop: Header=BB6_163 Depth=3
	s_sleep 1
	s_trap 2
	ds_read_b64 v[0:1], v0
	s_waitcnt lgkmcnt(0)
	s_andn2_b64 s[30:31], s[30:31], exec
	v_cmp_ge_u64_e32 vcc, v[0:1], v[12:13]
	s_orn2_b64 vcc, vcc, exec
	s_branch .LBB6_162
.LBB6_167:                              ;   in Loop: Header=BB6_57 Depth=2
	s_or_b64 exec, exec, s[92:93]
	s_and_saveexec_b64 s[92:93], s[94:95]
	s_xor_b64 s[92:93], exec, s[92:93]
	s_cbranch_execz .LBB6_169
; %bb.168:                              ;   in Loop: Header=BB6_57 Depth=2
	ds_write_b32 v0, v47
	s_trap 2
.LBB6_169:                              ;   in Loop: Header=BB6_57 Depth=2
	s_or_b64 exec, exec, s[90:91]
	;;#ASMSTART
	s_wakeup
	;;#ASMEND
.LBB6_170:                              ;   in Loop: Header=BB6_57 Depth=2
	s_or_b64 exec, exec, s[88:89]
.LBB6_171:                              ;   in Loop: Header=BB6_57 Depth=2
	s_andn2_saveexec_b64 s[78:79], s[78:79]
	s_cbranch_execz .LBB6_173
; %bb.172:                              ;   in Loop: Header=BB6_57 Depth=2
	s_waitcnt vmcnt(0) lgkmcnt(0)
	buffer_wbinvl1_vol
	s_barrier
.LBB6_173:                              ;   in Loop: Header=BB6_57 Depth=2
	s_or_b64 exec, exec, s[78:79]
	s_or_b64 exec, exec, s[76:77]
                                        ; implicit-def: $vgpr0
	s_and_saveexec_b64 s[76:77], s[24:25]
	s_xor_b64 s[76:77], exec, s[76:77]
	s_cbranch_execnz .LBB6_129
.LBB6_174:                              ;   in Loop: Header=BB6_57 Depth=2
	s_andn2_saveexec_b64 s[26:27], s[76:77]
	s_cbranch_execz .LBB6_132
.LBB6_175:                              ;   in Loop: Header=BB6_57 Depth=2
	s_and_saveexec_b64 s[76:77], s[56:57]
	s_xor_b64 s[76:77], exec, s[76:77]
	s_cbranch_execz .LBB6_190
; %bb.176:                              ;   in Loop: Header=BB6_57 Depth=2
	s_and_saveexec_b64 s[78:79], s[16:17]
	s_cbranch_execz .LBB6_189
; %bb.177:                              ;   in Loop: Header=BB6_57 Depth=2
	s_mov_b64 s[90:91], exec
	v_mbcnt_lo_u32_b32 v0, s90, 0
	v_mbcnt_hi_u32_b32 v0, s91, v0
	v_cmp_eq_u32_e32 vcc, 0, v0
	;;#ASMSTART
	s_waitcnt lgkmcnt(0) vmcnt(0)
	;;#ASMEND
	s_and_saveexec_b64 s[88:89], vcc
	s_cbranch_execz .LBB6_179
; %bb.178:                              ;   in Loop: Header=BB6_57 Depth=2
	s_bcnt1_i32_b64 s90, s[90:91]
	v_mov_b32_e32 v0, s90
	v_mov_b32_e32 v1, v23
	s_waitcnt lgkmcnt(0)
	ds_add_u64 v0, v[0:1]
	s_trap 2
.LBB6_179:                              ;   in Loop: Header=BB6_57 Depth=2
	s_or_b64 exec, exec, s[88:89]
	s_trap 2
	ds_read_b64 v[0:1], v0
	s_waitcnt vmcnt(0) lgkmcnt(0)
	v_add_co_u32_e32 v12, vcc, v12, v49
	v_addc_co_u32_e32 v13, vcc, 0, v13, vcc
	v_cmp_lt_u64_e32 vcc, v[0:1], v[12:13]
	s_and_saveexec_b64 s[88:89], vcc
	s_cbranch_execz .LBB6_188
; %bb.180:                              ;   in Loop: Header=BB6_57 Depth=2
	s_mov_b32 s36, 0
	s_mov_b64 s[90:91], 0
                                        ; implicit-def: $sgpr92_sgpr93
                                        ; implicit-def: $sgpr94_sgpr95
	s_branch .LBB6_182
.LBB6_181:                              ;   in Loop: Header=BB6_182 Depth=3
	s_or_b64 exec, exec, s[34:35]
	s_and_b64 vcc, exec, vcc
	s_or_b64 s[90:91], vcc, s[90:91]
	s_andn2_b64 s[92:93], s[92:93], exec
	s_and_b64 vcc, s[94:95], exec
	s_or_b64 s[92:93], s[92:93], vcc
	s_andn2_b64 exec, exec, s[90:91]
	s_cbranch_execz .LBB6_186
.LBB6_182:                              ;   Parent Loop BB6_47 Depth=1
                                        ;     Parent Loop BB6_57 Depth=2
                                        ; =>    This Inner Loop Header: Depth=3
	s_add_i32 s36, s36, 1
	s_cmpk_lg_i32 s36, 0x2710
	s_cselect_b64 s[30:31], -1, 0
	s_and_b64 vcc, exec, s[30:31]
	s_cbranch_vccz .LBB6_184
; %bb.183:                              ;   in Loop: Header=BB6_182 Depth=3
	s_mov_b64 vcc, -1
	s_or_b64 s[94:95], s[94:95], exec
	s_and_saveexec_b64 s[34:35], s[30:31]
	s_cbranch_execz .LBB6_181
	s_branch .LBB6_185
.LBB6_184:                              ;   in Loop: Header=BB6_182 Depth=3
	s_trap 2
	ds_read_b64 v[0:1], v0
	s_andn2_b64 s[30:31], s[30:31], exec
	s_mov_b32 s36, 0
	s_waitcnt lgkmcnt(0)
	flat_load_dword v0, v[0:1] glc
	s_waitcnt vmcnt(0) lgkmcnt(0)
	buffer_wbinvl1_vol
	v_cmp_eq_u32_e32 vcc, 0, v0
	s_and_b64 vcc, vcc, exec
	s_or_b64 s[30:31], s[30:31], vcc
	s_mov_b64 vcc, -1
	s_or_b64 s[94:95], s[94:95], exec
	s_and_saveexec_b64 s[34:35], s[30:31]
	s_cbranch_execz .LBB6_181
.LBB6_185:                              ;   in Loop: Header=BB6_182 Depth=3
	s_sleep 1
	s_trap 2
	ds_read_b64 v[0:1], v0
	s_waitcnt lgkmcnt(0)
	s_andn2_b64 s[94:95], s[94:95], exec
	v_cmp_ge_u64_e32 vcc, v[0:1], v[12:13]
	s_orn2_b64 vcc, vcc, exec
	s_branch .LBB6_181
.LBB6_186:                              ;   in Loop: Header=BB6_57 Depth=2
	s_or_b64 exec, exec, s[90:91]
	s_and_saveexec_b64 s[90:91], s[92:93]
	s_xor_b64 s[90:91], exec, s[90:91]
	s_cbranch_execz .LBB6_188
; %bb.187:                              ;   in Loop: Header=BB6_57 Depth=2
	ds_write_b32 v0, v47
	s_trap 2
.LBB6_188:                              ;   in Loop: Header=BB6_57 Depth=2
	s_or_b64 exec, exec, s[88:89]
	;;#ASMSTART
	s_wakeup
	;;#ASMEND
.LBB6_189:                              ;   in Loop: Header=BB6_57 Depth=2
	s_or_b64 exec, exec, s[78:79]
.LBB6_190:                              ;   in Loop: Header=BB6_57 Depth=2
	s_andn2_saveexec_b64 s[76:77], s[76:77]
	s_cbranch_execz .LBB6_192
; %bb.191:                              ;   in Loop: Header=BB6_57 Depth=2
	;;#ASMSTART
	s_waitcnt lgkmcnt(0) vmcnt(0)
	;;#ASMEND
	s_waitcnt vmcnt(0) lgkmcnt(0)
	s_barrier
.LBB6_192:                              ;   in Loop: Header=BB6_57 Depth=2
	s_or_b64 exec, exec, s[76:77]
	v_and_b32_e32 v0, 16, v62
	s_or_b64 exec, exec, s[26:27]
	v_cmp_ne_u32_e32 vcc, 0, v0
	s_and_saveexec_b64 s[26:27], vcc
	s_cbranch_execz .LBB6_56
.LBB6_193:                              ;   in Loop: Header=BB6_57 Depth=2
	s_and_saveexec_b64 s[76:77], s[14:15]
	s_cbranch_execz .LBB6_55
; %bb.194:                              ;   in Loop: Header=BB6_57 Depth=2
	s_waitcnt vmcnt(0)
	flat_store_dword v[30:31], v47
	s_branch .LBB6_55
.LBB6_195:                              ;   in Loop: Header=BB6_47 Depth=1
	s_or_b64 exec, exec, s[40:41]
	v_mov_b32_e32 v7, v5
	v_mov_b32_e32 v6, v4
.LBB6_196:                              ;   in Loop: Header=BB6_47 Depth=1
	s_or_b64 exec, exec, s[28:29]
	v_cmp_gt_i32_e32 vcc, 2, v0
	s_mov_b64 s[28:29], exec
	v_mov_b32_e32 v51, v7
	s_and_b64 s[26:27], s[28:29], vcc
	v_mov_b32_e32 v50, v6
	s_mov_b64 exec, s[26:27]
	s_cbranch_execz .LBB6_268
; %bb.197:                              ;   in Loop: Header=BB6_47 Depth=1
	v_cmp_eq_u32_e64 s[42:43], 0, v0
	s_mov_b64 s[40:41], 0
	s_branch .LBB6_200
.LBB6_198:                              ;   in Loop: Header=BB6_200 Depth=2
	s_or_b64 exec, exec, s[42:43]
	v_add_co_u32_e32 v50, vcc, 2, v50
	v_addc_co_u32_e32 v51, vcc, 0, v51, vcc
	flat_store_dwordx2 v[60:61], v[50:51]
.LBB6_199:                              ;   in Loop: Header=BB6_200 Depth=2
	s_or_b64 exec, exec, s[26:27]
	v_add_u32_e32 v32, v56, v32
	s_mov_b64 s[42:43], 0
	s_andn2_b64 exec, exec, s[40:41]
	s_cbranch_execz .LBB6_267
.LBB6_200:                              ;   Parent Loop BB6_47 Depth=1
                                        ; =>  This Loop Header: Depth=2
                                        ;       Child Loop BB6_206 Depth 3
                                        ;       Child Loop BB6_230 Depth 3
	;; [unrolled: 1-line block ×3, first 2 shown]
	v_sub_u32_e32 v0, v21, v32
	v_min_i32_e32 v56, v56, v0
	v_and_b32_e32 v0, 8, v62
	v_cmp_ne_u32_e32 vcc, 0, v0
	s_and_saveexec_b64 s[76:77], vcc
	s_cbranch_execz .LBB6_222
; %bb.201:                              ;   in Loop: Header=BB6_200 Depth=2
	s_waitcnt vmcnt(0) lgkmcnt(0)
	v_add_co_u32_e32 v0, vcc, 8, v26
	v_addc_co_u32_e32 v1, vcc, 0, v27, vcc
	v_mov_b32_e32 v3, v50
	v_mov_b32_e32 v4, v51
	v_add_co_u32_e32 v50, vcc, 2, v3
	v_addc_co_u32_e32 v51, vcc, 0, v4, vcc
	v_cmp_lt_u64_e32 vcc, v[0:1], v[50:51]
	s_and_saveexec_b64 s[78:79], vcc
	s_cbranch_execz .LBB6_213
; %bb.202:                              ;   in Loop: Header=BB6_200 Depth=2
	v_and_b32_e32 v0, 64, v62
	s_mov_b32 s75, 0
	v_cmp_eq_u32_e32 vcc, 0, v0
	s_mov_b64 s[88:89], 0
                                        ; implicit-def: $sgpr90_sgpr91
                                        ; implicit-def: $sgpr92_sgpr93
                                        ; implicit-def: $sgpr94_sgpr95
	s_branch .LBB6_206
.LBB6_203:                              ;   in Loop: Header=BB6_206 Depth=3
	s_waitcnt vmcnt(0) lgkmcnt(0)
	v_add_co_u32_e64 v1, s[26:27], 8, v26
	v_addc_co_u32_e64 v2, s[26:27], 0, v27, s[26:27]
	v_cmp_ge_u64_e64 s[26:27], v[1:2], v[50:51]
	s_or_b64 s[36:37], s[36:37], exec
	s_orn2_b64 s[34:35], s[26:27], exec
.LBB6_204:                              ;   in Loop: Header=BB6_206 Depth=3
	s_or_b64 exec, exec, s[48:49]
	s_andn2_b64 s[26:27], s[94:95], exec
	s_and_b64 s[94:95], s[36:37], exec
	s_or_b64 s[94:95], s[26:27], s[94:95]
	s_andn2_b64 s[26:27], s[92:93], exec
	s_and_b64 s[92:93], s[34:35], exec
	s_or_b64 s[92:93], s[26:27], s[92:93]
.LBB6_205:                              ;   in Loop: Header=BB6_206 Depth=3
	s_or_b64 exec, exec, s[30:31]
	s_and_b64 s[26:27], exec, s[92:93]
	s_or_b64 s[88:89], s[26:27], s[88:89]
	s_andn2_b64 s[26:27], s[90:91], exec
	s_and_b64 s[90:91], s[94:95], exec
	s_or_b64 s[90:91], s[26:27], s[90:91]
	s_andn2_b64 exec, exec, s[88:89]
	s_cbranch_execz .LBB6_210
.LBB6_206:                              ;   Parent Loop BB6_47 Depth=1
                                        ;     Parent Loop BB6_200 Depth=2
                                        ; =>    This Inner Loop Header: Depth=3
	s_sleep 1
	s_waitcnt vmcnt(0) lgkmcnt(0)
	flat_load_dwordx2 v[26:27], v[60:61] glc
	s_or_b64 s[94:95], s[94:95], exec
	s_or_b64 s[92:93], s[92:93], exec
                                        ; implicit-def: $vgpr0
	s_and_saveexec_b64 s[30:31], vcc
	s_cbranch_execz .LBB6_205
; %bb.207:                              ;   in Loop: Header=BB6_206 Depth=3
	s_cmpk_lt_i32 s75, 0x270f
	s_cselect_b64 s[38:39], -1, 0
	s_cmpk_gt_i32 s75, 0x270e
	s_mov_b64 s[34:35], -1
	s_cbranch_scc0 .LBB6_209
; %bb.208:                              ;   in Loop: Header=BB6_206 Depth=3
	s_trap 2
	ds_read_b64 v[0:1], v0
	s_andn2_b64 s[38:39], s[38:39], exec
	s_mov_b32 s75, 0
	s_mov_b64 s[36:37], 0
	s_waitcnt vmcnt(0) lgkmcnt(0)
	flat_load_dword v0, v[0:1] glc
	s_waitcnt vmcnt(0) lgkmcnt(0)
	buffer_wbinvl1_vol
	v_cmp_eq_u32_e64 s[26:27], 0, v0
	s_and_b64 s[26:27], s[26:27], exec
	s_or_b64 s[38:39], s[38:39], s[26:27]
	s_and_saveexec_b64 s[48:49], s[38:39]
	s_cbranch_execz .LBB6_204
	s_branch .LBB6_203
.LBB6_209:                              ;   in Loop: Header=BB6_206 Depth=3
	s_add_i32 s75, s75, 1
	s_mov_b64 s[36:37], -1
                                        ; implicit-def: $vgpr0
	s_and_saveexec_b64 s[48:49], s[38:39]
	s_cbranch_execz .LBB6_204
	s_branch .LBB6_203
.LBB6_210:                              ;   in Loop: Header=BB6_200 Depth=2
	s_or_b64 exec, exec, s[88:89]
	s_xor_b64 s[26:27], s[90:91], -1
	s_and_saveexec_b64 s[88:89], s[26:27]
	s_xor_b64 s[26:27], exec, s[88:89]
	s_cbranch_execz .LBB6_212
; %bb.211:                              ;   in Loop: Header=BB6_200 Depth=2
	v_or_b32_e32 v62, 64, v62
	s_waitcnt lgkmcnt(0)
	ds_write_b32 v0, v0
	s_trap 2
.LBB6_212:                              ;   in Loop: Header=BB6_200 Depth=2
	s_or_b64 exec, exec, s[26:27]
.LBB6_213:                              ;   in Loop: Header=BB6_200 Depth=2
	s_or_b64 exec, exec, s[78:79]
	v_and_b32_e32 v0, 0x100, v62
	v_cmp_ne_u32_e32 vcc, 0, v0
	v_and_b32_e32 v0, 7, v3
	s_mov_b64 s[26:27], -1
	;;#ASMSTART
	s_wakeup
	;;#ASMEND
                                        ; implicit-def: $vgpr36_vgpr37
	s_and_saveexec_b64 s[78:79], vcc
	s_cbranch_execz .LBB6_217
; %bb.214:                              ;   in Loop: Header=BB6_200 Depth=2
	v_mad_u64_u32 v[52:53], s[26:27], v0, 24, v[19:20]
	v_ashrrev_i32_e32 v57, 31, v56
	v_lshlrev_b64 v[1:2], 2, v[56:57]
                                        ; implicit-def: $vgpr36_vgpr37
	flat_store_dwordx2 v[52:53], v[1:2] offset:8
	flat_load_dword v1, v[52:53]
	s_waitcnt vmcnt(0) lgkmcnt(0)
	v_cmp_ne_u32_e32 vcc, 1, v1
	v_cmp_eq_u32_e64 s[26:27], 1, v1
	s_and_saveexec_b64 s[88:89], s[26:27]
	s_cbranch_execz .LBB6_216
; %bb.215:                              ;   in Loop: Header=BB6_200 Depth=2
	flat_load_dword v1, v[52:53] offset:4 glc
	s_waitcnt vmcnt(0) lgkmcnt(0)
	v_ashrrev_i32_e32 v2, 31, v1
	v_lshrrev_b64 v[36:37], 2, v[1:2]
.LBB6_216:                              ;   in Loop: Header=BB6_200 Depth=2
	s_or_b64 exec, exec, s[88:89]
	s_orn2_b64 s[26:27], vcc, exec
.LBB6_217:                              ;   in Loop: Header=BB6_200 Depth=2
	s_or_b64 exec, exec, s[78:79]
	s_and_saveexec_b64 s[78:79], s[26:27]
; %bb.218:                              ;   in Loop: Header=BB6_200 Depth=2
	v_mad_i64_i32 v[36:37], s[26:27], v0, v58, 0
; %bb.219:                              ;   in Loop: Header=BB6_200 Depth=2
	s_or_b64 exec, exec, s[78:79]
	v_lshlrev_b64 v[0:1], 2, v[36:37]
	v_add_co_u32_e32 v0, vcc, v28, v0
	v_addc_co_u32_e32 v1, vcc, v29, v1, vcc
	ds_write_b64 v0, v[0:1] offset:784
	v_and_b32_e32 v0, 0x2000, v62
	v_cmp_ne_u32_e32 vcc, 0, v0
	s_and_saveexec_b64 s[26:27], vcc
	s_cbranch_execz .LBB6_221
; %bb.220:                              ;   in Loop: Header=BB6_200 Depth=2
	ds_read_b64 v[0:1], v0 offset:872
	s_waitcnt lgkmcnt(0)
	v_add_co_u32_e32 v0, vcc, 1, v0
	v_addc_co_u32_e32 v1, vcc, 0, v1, vcc
	ds_write_b64 v0, v[0:1] offset:872
.LBB6_221:                              ;   in Loop: Header=BB6_200 Depth=2
	s_or_b64 exec, exec, s[26:27]
.LBB6_222:                              ;   in Loop: Header=BB6_200 Depth=2
	s_or_b64 exec, exec, s[76:77]
	s_xor_b64 s[26:27], s[42:43], -1
	s_and_b64 s[26:27], exec, s[26:27]
	s_or_b64 s[40:41], s[26:27], s[40:41]
	s_and_saveexec_b64 s[26:27], s[10:11]
	s_cbranch_execz .LBB6_241
; %bb.223:                              ;   in Loop: Header=BB6_200 Depth=2
	s_and_saveexec_b64 s[42:43], s[56:57]
	s_xor_b64 s[42:43], exec, s[42:43]
	s_cbranch_execz .LBB6_238
; %bb.224:                              ;   in Loop: Header=BB6_200 Depth=2
	s_and_saveexec_b64 s[76:77], s[16:17]
	s_cbranch_execz .LBB6_237
; %bb.225:                              ;   in Loop: Header=BB6_200 Depth=2
	s_mov_b64 s[88:89], exec
	v_mbcnt_lo_u32_b32 v0, s88, 0
	v_mbcnt_hi_u32_b32 v0, s89, v0
	v_cmp_eq_u32_e32 vcc, 0, v0
	s_waitcnt vmcnt(0) lgkmcnt(0)
	buffer_wbinvl1_vol
	s_and_saveexec_b64 s[78:79], vcc
	s_cbranch_execz .LBB6_227
; %bb.226:                              ;   in Loop: Header=BB6_200 Depth=2
	s_bcnt1_i32_b64 s75, s[88:89]
	v_mov_b32_e32 v0, s75
	v_mov_b32_e32 v1, v23
	ds_add_u64 v0, v[0:1]
	s_trap 2
.LBB6_227:                              ;   in Loop: Header=BB6_200 Depth=2
	s_or_b64 exec, exec, s[78:79]
	s_trap 2
	ds_read_b64 v[0:1], v0
	s_waitcnt lgkmcnt(0)
	v_add_co_u32_e32 v12, vcc, v12, v49
	v_addc_co_u32_e32 v13, vcc, 0, v13, vcc
	v_cmp_lt_u64_e32 vcc, v[0:1], v[12:13]
	s_and_saveexec_b64 s[78:79], vcc
	s_cbranch_execz .LBB6_236
; %bb.228:                              ;   in Loop: Header=BB6_200 Depth=2
	s_mov_b32 s75, 0
	s_mov_b64 s[88:89], 0
                                        ; implicit-def: $sgpr90_sgpr91
                                        ; implicit-def: $sgpr92_sgpr93
	s_branch .LBB6_230
.LBB6_229:                              ;   in Loop: Header=BB6_230 Depth=3
	s_or_b64 exec, exec, s[30:31]
	s_and_b64 s[94:95], exec, vcc
	s_or_b64 s[88:89], s[94:95], s[88:89]
	s_andn2_b64 s[90:91], s[90:91], exec
	s_and_b64 s[94:95], s[92:93], exec
	s_or_b64 s[90:91], s[90:91], s[94:95]
	s_andn2_b64 exec, exec, s[88:89]
	s_cbranch_execz .LBB6_234
.LBB6_230:                              ;   Parent Loop BB6_47 Depth=1
                                        ;     Parent Loop BB6_200 Depth=2
                                        ; =>    This Inner Loop Header: Depth=3
	s_add_i32 s75, s75, 1
	s_cmpk_lg_i32 s75, 0x2710
	s_cselect_b64 s[94:95], -1, 0
	s_and_b64 vcc, exec, s[94:95]
	s_cbranch_vccz .LBB6_232
; %bb.231:                              ;   in Loop: Header=BB6_230 Depth=3
	s_mov_b64 vcc, -1
	s_or_b64 s[92:93], s[92:93], exec
	s_and_saveexec_b64 s[30:31], s[94:95]
	s_cbranch_execz .LBB6_229
	s_branch .LBB6_233
.LBB6_232:                              ;   in Loop: Header=BB6_230 Depth=3
	s_trap 2
	ds_read_b64 v[0:1], v0
	s_andn2_b64 s[94:95], s[94:95], exec
	s_mov_b32 s75, 0
	s_waitcnt lgkmcnt(0)
	flat_load_dword v0, v[0:1] glc
	s_waitcnt vmcnt(0) lgkmcnt(0)
	buffer_wbinvl1_vol
	v_cmp_eq_u32_e32 vcc, 0, v0
	s_and_b64 vcc, vcc, exec
	s_or_b64 s[94:95], s[94:95], vcc
	s_mov_b64 vcc, -1
	s_or_b64 s[92:93], s[92:93], exec
	s_and_saveexec_b64 s[30:31], s[94:95]
	s_cbranch_execz .LBB6_229
.LBB6_233:                              ;   in Loop: Header=BB6_230 Depth=3
	s_sleep 1
	s_trap 2
	ds_read_b64 v[0:1], v0
	s_waitcnt lgkmcnt(0)
	s_andn2_b64 s[92:93], s[92:93], exec
	v_cmp_ge_u64_e32 vcc, v[0:1], v[12:13]
	s_orn2_b64 vcc, vcc, exec
	s_branch .LBB6_229
.LBB6_234:                              ;   in Loop: Header=BB6_200 Depth=2
	s_or_b64 exec, exec, s[88:89]
	s_and_saveexec_b64 s[88:89], s[90:91]
	s_xor_b64 s[88:89], exec, s[88:89]
	s_cbranch_execz .LBB6_236
; %bb.235:                              ;   in Loop: Header=BB6_200 Depth=2
	ds_write_b32 v0, v47
	s_trap 2
.LBB6_236:                              ;   in Loop: Header=BB6_200 Depth=2
	s_or_b64 exec, exec, s[78:79]
	;;#ASMSTART
	s_wakeup
	;;#ASMEND
.LBB6_237:                              ;   in Loop: Header=BB6_200 Depth=2
	s_or_b64 exec, exec, s[76:77]
.LBB6_238:                              ;   in Loop: Header=BB6_200 Depth=2
	s_andn2_saveexec_b64 s[42:43], s[42:43]
	s_cbranch_execz .LBB6_240
; %bb.239:                              ;   in Loop: Header=BB6_200 Depth=2
	s_waitcnt vmcnt(0) lgkmcnt(0)
	buffer_wbinvl1_vol
	s_barrier
.LBB6_240:                              ;   in Loop: Header=BB6_200 Depth=2
	s_or_b64 exec, exec, s[42:43]
.LBB6_241:                              ;   in Loop: Header=BB6_200 Depth=2
	s_or_b64 exec, exec, s[26:27]
                                        ; implicit-def: $vgpr0
	s_and_saveexec_b64 s[26:27], s[24:25]
	s_xor_b64 s[26:27], exec, s[26:27]
	s_cbranch_execz .LBB6_246
; %bb.242:                              ;   in Loop: Header=BB6_200 Depth=2
	s_trap 2
	ds_read_b32 v0, v0
	v_cmp_lt_i32_e32 vcc, 0, v56
	v_and_b32_e32 v1, 16, v62
	s_waitcnt lgkmcnt(0)
	v_readfirstlane_b32 s42, v0
	s_cmp_eq_u32 s42, 0
	s_cselect_b64 s[42:43], -1, 0
	s_and_b64 s[42:43], vcc, s[42:43]
	v_cmp_ne_u32_e32 vcc, 0, v1
	v_and_b32_e32 v0, 16, v62
	s_and_b64 s[76:77], vcc, s[42:43]
	s_and_saveexec_b64 s[42:43], s[76:77]
	s_cbranch_execz .LBB6_244
; %bb.243:                              ;   in Loop: Header=BB6_200 Depth=2
	v_mov_b32_e32 v0, 1
	s_waitcnt vmcnt(0)
	buffer_wbinvl1_vol
.LBB6_244:                              ;   in Loop: Header=BB6_200 Depth=2
	s_or_b64 exec, exec, s[42:43]
	s_andn2_saveexec_b64 s[26:27], s[26:27]
	s_cbranch_execnz .LBB6_247
.LBB6_245:                              ;   in Loop: Header=BB6_200 Depth=2
	s_or_b64 exec, exec, s[26:27]
	v_cmp_ne_u32_e32 vcc, 0, v0
	s_and_saveexec_b64 s[26:27], vcc
	s_cbranch_execz .LBB6_199
	s_branch .LBB6_265
.LBB6_246:                              ;   in Loop: Header=BB6_200 Depth=2
	s_andn2_saveexec_b64 s[26:27], s[26:27]
	s_cbranch_execz .LBB6_245
.LBB6_247:                              ;   in Loop: Header=BB6_200 Depth=2
	s_and_saveexec_b64 s[42:43], s[56:57]
	s_xor_b64 s[42:43], exec, s[42:43]
	s_cbranch_execz .LBB6_262
; %bb.248:                              ;   in Loop: Header=BB6_200 Depth=2
	s_and_saveexec_b64 s[76:77], s[16:17]
	s_cbranch_execz .LBB6_261
; %bb.249:                              ;   in Loop: Header=BB6_200 Depth=2
	s_mov_b64 s[88:89], exec
	v_mbcnt_lo_u32_b32 v0, s88, 0
	v_mbcnt_hi_u32_b32 v0, s89, v0
	v_cmp_eq_u32_e32 vcc, 0, v0
	;;#ASMSTART
	s_waitcnt lgkmcnt(0) vmcnt(0)
	;;#ASMEND
	s_and_saveexec_b64 s[78:79], vcc
	s_cbranch_execz .LBB6_251
; %bb.250:                              ;   in Loop: Header=BB6_200 Depth=2
	s_bcnt1_i32_b64 s75, s[88:89]
	v_mov_b32_e32 v0, s75
	v_mov_b32_e32 v1, v23
	s_waitcnt lgkmcnt(0)
	ds_add_u64 v0, v[0:1]
	s_trap 2
.LBB6_251:                              ;   in Loop: Header=BB6_200 Depth=2
	s_or_b64 exec, exec, s[78:79]
	s_trap 2
	ds_read_b64 v[0:1], v0
	s_waitcnt lgkmcnt(0)
	v_add_co_u32_e32 v12, vcc, v12, v49
	v_addc_co_u32_e32 v13, vcc, 0, v13, vcc
	v_cmp_lt_u64_e32 vcc, v[0:1], v[12:13]
	s_and_saveexec_b64 s[78:79], vcc
	s_cbranch_execz .LBB6_260
; %bb.252:                              ;   in Loop: Header=BB6_200 Depth=2
	s_mov_b32 s75, 0
	s_mov_b64 s[88:89], 0
                                        ; implicit-def: $sgpr90_sgpr91
                                        ; implicit-def: $sgpr92_sgpr93
	s_branch .LBB6_254
.LBB6_253:                              ;   in Loop: Header=BB6_254 Depth=3
	s_or_b64 exec, exec, s[30:31]
	s_and_b64 s[94:95], exec, vcc
	s_or_b64 s[88:89], s[94:95], s[88:89]
	s_andn2_b64 s[90:91], s[90:91], exec
	s_and_b64 s[94:95], s[92:93], exec
	s_or_b64 s[90:91], s[90:91], s[94:95]
	s_andn2_b64 exec, exec, s[88:89]
	s_cbranch_execz .LBB6_258
.LBB6_254:                              ;   Parent Loop BB6_47 Depth=1
                                        ;     Parent Loop BB6_200 Depth=2
                                        ; =>    This Inner Loop Header: Depth=3
	s_add_i32 s75, s75, 1
	s_cmpk_lg_i32 s75, 0x2710
	s_cselect_b64 s[94:95], -1, 0
	s_and_b64 vcc, exec, s[94:95]
	s_cbranch_vccz .LBB6_256
; %bb.255:                              ;   in Loop: Header=BB6_254 Depth=3
	s_mov_b64 vcc, -1
	s_or_b64 s[92:93], s[92:93], exec
	s_and_saveexec_b64 s[30:31], s[94:95]
	s_cbranch_execz .LBB6_253
	s_branch .LBB6_257
.LBB6_256:                              ;   in Loop: Header=BB6_254 Depth=3
	s_trap 2
	ds_read_b64 v[0:1], v0
	s_andn2_b64 s[94:95], s[94:95], exec
	s_mov_b32 s75, 0
	s_waitcnt vmcnt(0) lgkmcnt(0)
	flat_load_dword v0, v[0:1] glc
	s_waitcnt vmcnt(0) lgkmcnt(0)
	buffer_wbinvl1_vol
	v_cmp_eq_u32_e32 vcc, 0, v0
	s_and_b64 vcc, vcc, exec
	s_or_b64 s[94:95], s[94:95], vcc
	s_mov_b64 vcc, -1
	s_or_b64 s[92:93], s[92:93], exec
	s_and_saveexec_b64 s[30:31], s[94:95]
	s_cbranch_execz .LBB6_253
.LBB6_257:                              ;   in Loop: Header=BB6_254 Depth=3
	s_sleep 1
	s_trap 2
	ds_read_b64 v[0:1], v0
	s_waitcnt lgkmcnt(0)
	s_andn2_b64 s[92:93], s[92:93], exec
	v_cmp_ge_u64_e32 vcc, v[0:1], v[12:13]
	s_orn2_b64 vcc, vcc, exec
	s_branch .LBB6_253
.LBB6_258:                              ;   in Loop: Header=BB6_200 Depth=2
	s_or_b64 exec, exec, s[88:89]
	s_and_saveexec_b64 s[88:89], s[90:91]
	s_xor_b64 s[88:89], exec, s[88:89]
	s_cbranch_execz .LBB6_260
; %bb.259:                              ;   in Loop: Header=BB6_200 Depth=2
	ds_write_b32 v0, v47
	s_trap 2
.LBB6_260:                              ;   in Loop: Header=BB6_200 Depth=2
	s_or_b64 exec, exec, s[78:79]
	;;#ASMSTART
	s_wakeup
	;;#ASMEND
.LBB6_261:                              ;   in Loop: Header=BB6_200 Depth=2
	s_or_b64 exec, exec, s[76:77]
.LBB6_262:                              ;   in Loop: Header=BB6_200 Depth=2
	s_andn2_saveexec_b64 s[42:43], s[42:43]
	s_cbranch_execz .LBB6_264
; %bb.263:                              ;   in Loop: Header=BB6_200 Depth=2
	;;#ASMSTART
	s_waitcnt lgkmcnt(0) vmcnt(0)
	;;#ASMEND
	s_waitcnt vmcnt(0) lgkmcnt(0)
	s_barrier
.LBB6_264:                              ;   in Loop: Header=BB6_200 Depth=2
	s_or_b64 exec, exec, s[42:43]
	v_and_b32_e32 v0, 16, v62
	s_or_b64 exec, exec, s[26:27]
	v_cmp_ne_u32_e32 vcc, 0, v0
	s_and_saveexec_b64 s[26:27], vcc
	s_cbranch_execz .LBB6_199
.LBB6_265:                              ;   in Loop: Header=BB6_200 Depth=2
	s_and_saveexec_b64 s[42:43], s[14:15]
	s_cbranch_execz .LBB6_198
; %bb.266:                              ;   in Loop: Header=BB6_200 Depth=2
	flat_store_dword v[30:31], v47
	s_branch .LBB6_198
.LBB6_267:                              ;   in Loop: Header=BB6_47 Depth=1
	s_or_b64 exec, exec, s[40:41]
.LBB6_268:                              ;   in Loop: Header=BB6_47 Depth=1
	s_or_b64 exec, exec, s[28:29]
	buffer_load_dword v32, off, s[0:3], s33 offset:220 ; 4-byte Folded Reload
	v_cndmask_b32_e64 v0, 0, 1, s[60:61]
	v_cmp_ne_u32_e64 s[26:27], 1, v0
	s_andn2_b64 vcc, exec, s[60:61]
	s_cbranch_vccnz .LBB6_495
; %bb.269:                              ;   in Loop: Header=BB6_47 Depth=1
	v_mov_b32_e32 v4, v50
	v_mov_b32_e32 v5, v51
	s_mov_b32 s75, 2
.LBB6_270:                              ;   Parent Loop BB6_47 Depth=1
                                        ; =>  This Loop Header: Depth=2
                                        ;       Child Loop BB6_273 Depth 3
                                        ;         Child Loop BB6_281 Depth 4
                                        ;         Child Loop BB6_309 Depth 4
	;; [unrolled: 1-line block ×9, first 2 shown]
                                        ;       Child Loop BB6_419 Depth 3
                                        ;         Child Loop BB6_425 Depth 4
                                        ;         Child Loop BB6_453 Depth 4
	;; [unrolled: 1-line block ×3, first 2 shown]
	buffer_load_dword v2, off, s[0:3], s33 offset:192 ; 4-byte Folded Reload
	buffer_load_dword v3, off, s[0:3], s33 offset:196 ; 4-byte Folded Reload
	s_sub_i32 s28, s70, s75
	s_cmp_ge_i32 s28, s52
	s_cselect_b32 s29, s52, 0
	s_sub_i32 s28, s28, s29
	s_ashr_i32 s40, s28, 31
	v_mov_b32_e32 v10, 0
	s_waitcnt vmcnt(0)
	v_mul_lo_u32 v1, v2, s40
	v_mul_lo_u32 v0, v3, s28
	v_mad_u64_u32 v[50:51], s[28:29], v2, s28, 0
	v_add3_u32 v51, v51, v1, v0
	buffer_load_dword v0, off, s[0:3], s33 offset:184 ; 4-byte Folded Reload
	buffer_load_dword v1, off, s[0:3], s33 offset:188 ; 4-byte Folded Reload
	s_waitcnt vmcnt(0)
	v_sub_co_u32_e32 v0, vcc, v0, v50
	v_subb_co_u32_e32 v1, vcc, v1, v51, vcc
	v_cmp_lt_i64_e32 vcc, v[2:3], v[0:1]
	v_cndmask_b32_e32 v0, v0, v2, vcc
	v_max_i32_e32 v46, 0, v0
	v_add_u32_e32 v1, 31, v46
	v_lshrrev_b32_e32 v1, 1, v1
	v_and_b32_e32 v1, 0x3ffffff0, v1
	v_cmp_lt_i32_e32 vcc, 0, v0
	v_max_i32_e32 v8, s81, v1
	s_and_b64 s[28:29], s[72:73], vcc
	v_mov_b32_e32 v0, 0
	s_and_saveexec_b64 s[40:41], s[28:29]
	s_cbranch_execz .LBB6_416
; %bb.271:                              ;   in Loop: Header=BB6_270 Depth=2
	v_lshlrev_b64 v[56:57], 2, v[50:51]
	v_mov_b32_e32 v51, v5
	s_mov_b32 s96, 1
	s_mov_b64 s[76:77], -1
	v_mov_b32_e32 v10, 0
	s_mov_b64 s[42:43], 0
	v_mov_b32_e32 v50, v4
	buffer_store_dword v56, off, s[0:3], s33 offset:120 ; 4-byte Folded Spill
	s_nop 0
	buffer_store_dword v57, off, s[0:3], s33 offset:124 ; 4-byte Folded Spill
	s_branch .LBB6_273
.LBB6_272:                              ;   in Loop: Header=BB6_273 Depth=3
	s_or_b64 exec, exec, s[28:29]
	v_add_u32_e32 v10, v8, v10
	v_cmp_ge_i32_e32 vcc, v10, v46
	s_xor_b64 s[28:29], s[76:77], -1
	s_or_b64 s[28:29], s[28:29], vcc
	s_and_b64 s[28:29], exec, s[28:29]
	s_or_b64 s[42:43], s[28:29], s[42:43]
	s_mov_b64 s[76:77], 0
	v_mov_b32_e32 v0, s96
	s_mov_b32 s96, 2
	s_andn2_b64 exec, exec, s[42:43]
	s_cbranch_execz .LBB6_415
.LBB6_273:                              ;   Parent Loop BB6_47 Depth=1
                                        ;     Parent Loop BB6_270 Depth=2
                                        ; =>    This Loop Header: Depth=3
                                        ;         Child Loop BB6_281 Depth 4
                                        ;         Child Loop BB6_309 Depth 4
	;; [unrolled: 1-line block ×9, first 2 shown]
	s_and_saveexec_b64 s[28:29], s[4:5]
	s_cbranch_execz .LBB6_275
; %bb.274:                              ;   in Loop: Header=BB6_273 Depth=3
	s_trap 2
	ds_read_b64 v[3:4], v0
	buffer_load_dword v0, off, s[0:3], s33 offset:112 ; 4-byte Folded Reload
	buffer_load_dword v1, off, s[0:3], s33 offset:116 ; 4-byte Folded Reload
	s_waitcnt vmcnt(0)
	v_mov_b32_e32 v24, v23
	v_ashrrev_i32_e32 v11, 31, v10
	s_waitcnt vmcnt(0)
	v_lshlrev_b64 v[5:6], 2, v[0:1]
	s_waitcnt lgkmcnt(0)
	v_add_co_u32_e32 v0, vcc, v3, v5
	v_addc_co_u32_e32 v3, vcc, v4, v6, vcc
	v_add_co_u32_e32 v0, vcc, v0, v56
	ds_write_b64 v0, v[23:24]
	buffer_load_dword v24, off, s[0:3], s33 offset:88 ; 4-byte Folded Reload
	v_addc_co_u32_e32 v5, vcc, v3, v57, vcc
	v_lshlrev_b64 v[3:4], 2, v[10:11]
	v_add_co_u32_e32 v3, vcc, v0, v3
	v_addc_co_u32_e32 v4, vcc, v5, v4, vcc
	ds_write_b64 v0, v[3:4]
.LBB6_275:                              ;   in Loop: Header=BB6_273 Depth=3
	s_or_b64 exec, exec, s[28:29]
	v_sub_u32_e32 v0, v46, v10
	v_min_i32_e32 v8, v8, v0
	v_and_b32_e32 v0, 12, v62
	v_cmp_ne_u32_e32 vcc, 0, v0
	s_and_saveexec_b64 s[78:79], vcc
	s_cbranch_execz .LBB6_301
; %bb.276:                              ;   in Loop: Header=BB6_273 Depth=3
	v_and_b32_e32 v0, 8, v62
	s_waitcnt vmcnt(0) lgkmcnt(0)
	v_add_co_u32_e32 v3, vcc, v26, v0
	v_addc_co_u32_e32 v4, vcc, 0, v27, vcc
	v_add_co_u32_e32 v52, vcc, 2, v50
	v_addc_co_u32_e32 v53, vcc, 0, v51, vcc
	v_cmp_lt_u64_e32 vcc, v[3:4], v[52:53]
	s_and_saveexec_b64 s[88:89], vcc
	s_cbranch_execz .LBB6_288
; %bb.277:                              ;   in Loop: Header=BB6_273 Depth=3
	v_and_b32_e32 v3, 64, v62
	s_mov_b32 s97, 0
	v_cmp_eq_u32_e32 vcc, 0, v3
	s_mov_b64 s[90:91], 0
                                        ; implicit-def: $sgpr92_sgpr93
                                        ; implicit-def: $sgpr94_sgpr95
                                        ; implicit-def: $sgpr30_sgpr31
	s_branch .LBB6_281
.LBB6_278:                              ;   in Loop: Header=BB6_281 Depth=4
	s_waitcnt vmcnt(0) lgkmcnt(0)
	v_add_co_u32_e64 v4, s[28:29], v26, v0
	v_addc_co_u32_e64 v5, s[28:29], 0, v27, s[28:29]
	v_cmp_ge_u64_e64 s[28:29], v[4:5], v[52:53]
	s_or_b64 s[38:39], s[38:39], exec
	s_orn2_b64 s[36:37], s[28:29], exec
.LBB6_279:                              ;   in Loop: Header=BB6_281 Depth=4
	s_or_b64 exec, exec, s[50:51]
	s_andn2_b64 s[28:29], s[30:31], exec
	s_and_b64 s[30:31], s[38:39], exec
	s_or_b64 s[30:31], s[28:29], s[30:31]
	s_andn2_b64 s[28:29], s[94:95], exec
	s_and_b64 s[94:95], s[36:37], exec
	s_or_b64 s[94:95], s[28:29], s[94:95]
.LBB6_280:                              ;   in Loop: Header=BB6_281 Depth=4
	s_or_b64 exec, exec, s[34:35]
	s_and_b64 s[28:29], exec, s[94:95]
	s_or_b64 s[90:91], s[28:29], s[90:91]
	s_andn2_b64 s[28:29], s[92:93], exec
	s_and_b64 s[92:93], s[30:31], exec
	s_or_b64 s[92:93], s[28:29], s[92:93]
	s_andn2_b64 exec, exec, s[90:91]
	s_cbranch_execz .LBB6_285
.LBB6_281:                              ;   Parent Loop BB6_47 Depth=1
                                        ;     Parent Loop BB6_270 Depth=2
                                        ;       Parent Loop BB6_273 Depth=3
                                        ; =>      This Inner Loop Header: Depth=4
	s_sleep 1
	s_waitcnt vmcnt(0) lgkmcnt(0)
	flat_load_dwordx2 v[26:27], v[60:61] glc
	s_or_b64 s[30:31], s[30:31], exec
	s_or_b64 s[94:95], s[94:95], exec
                                        ; implicit-def: $vgpr3
	s_and_saveexec_b64 s[34:35], vcc
	s_cbranch_execz .LBB6_280
; %bb.282:                              ;   in Loop: Header=BB6_281 Depth=4
	s_cmpk_lt_i32 s97, 0x270f
	s_cselect_b64 s[48:49], -1, 0
	s_cmpk_gt_i32 s97, 0x270e
	s_mov_b64 s[36:37], -1
	s_cbranch_scc0 .LBB6_284
; %bb.283:                              ;   in Loop: Header=BB6_281 Depth=4
	s_trap 2
	ds_read_b64 v[3:4], v0
	s_andn2_b64 s[48:49], s[48:49], exec
	s_mov_b32 s97, 0
	s_mov_b64 s[38:39], 0
	s_waitcnt vmcnt(0) lgkmcnt(0)
	flat_load_dword v3, v[3:4] glc
	s_waitcnt vmcnt(0) lgkmcnt(0)
	buffer_wbinvl1_vol
	v_cmp_eq_u32_e64 s[28:29], 0, v3
	s_and_b64 s[28:29], s[28:29], exec
	s_or_b64 s[48:49], s[48:49], s[28:29]
	s_and_saveexec_b64 s[50:51], s[48:49]
	s_cbranch_execz .LBB6_279
	s_branch .LBB6_278
.LBB6_284:                              ;   in Loop: Header=BB6_281 Depth=4
	s_add_i32 s97, s97, 1
	s_mov_b64 s[38:39], -1
                                        ; implicit-def: $vgpr3
	s_and_saveexec_b64 s[50:51], s[48:49]
	s_cbranch_execz .LBB6_279
	s_branch .LBB6_278
.LBB6_285:                              ;   in Loop: Header=BB6_273 Depth=3
	s_or_b64 exec, exec, s[90:91]
	s_xor_b64 s[28:29], s[92:93], -1
	s_and_saveexec_b64 s[90:91], s[28:29]
	s_xor_b64 s[28:29], exec, s[90:91]
	s_cbranch_execz .LBB6_287
; %bb.286:                              ;   in Loop: Header=BB6_273 Depth=3
	v_or_b32_e32 v62, 64, v62
	s_waitcnt lgkmcnt(0)
	ds_write_b32 v0, v3
	s_trap 2
.LBB6_287:                              ;   in Loop: Header=BB6_273 Depth=3
	s_or_b64 exec, exec, s[28:29]
.LBB6_288:                              ;   in Loop: Header=BB6_273 Depth=3
	s_or_b64 exec, exec, s[88:89]
	v_and_b32_e32 v3, 0x108, v62
	v_cmp_ne_u32_e32 vcc, s65, v3
	;;#ASMSTART
	s_wakeup
	;;#ASMEND
                                        ; implicit-def: $vgpr54_vgpr55
	s_and_saveexec_b64 s[28:29], vcc
	s_xor_b64 s[28:29], exec, s[28:29]
; %bb.289:                              ;   in Loop: Header=BB6_273 Depth=3
	v_and_b32_e32 v54, 7, v50
	v_mov_b32_e32 v55, v23
                                        ; implicit-def: $vgpr50_vgpr51
; %bb.290:                              ;   in Loop: Header=BB6_273 Depth=3
	s_andn2_saveexec_b64 s[28:29], s[28:29]
	s_cbranch_execz .LBB6_292
; %bb.291:                              ;   in Loop: Header=BB6_273 Depth=3
	v_and_b32_e32 v54, 7, v50
	v_mad_u64_u32 v[3:4], s[88:89], v54, 24, v[19:20]
	v_ashrrev_i32_e32 v9, 31, v8
	v_lshlrev_b64 v[5:6], 2, v[8:9]
	v_mov_b32_e32 v55, v23
	flat_store_dwordx2 v[3:4], v[5:6] offset:8
.LBB6_292:                              ;   in Loop: Header=BB6_273 Depth=3
	s_or_b64 exec, exec, s[28:29]
	v_and_b32_e32 v3, 0x100, v62
	v_cmp_ne_u32_e32 vcc, 0, v3
	s_mov_b64 s[28:29], -1
                                        ; implicit-def: $vgpr36_vgpr37
	s_and_saveexec_b64 s[88:89], vcc
	s_cbranch_execz .LBB6_296
; %bb.293:                              ;   in Loop: Header=BB6_273 Depth=3
	v_mad_u64_u32 v[40:41], s[28:29], v54, 24, v[19:20]
                                        ; implicit-def: $vgpr36_vgpr37
	v_mov_b32_e32 v3, v41
	v_mad_u64_u32 v[3:4], s[28:29], v55, 24, v[3:4]
	v_mov_b32_e32 v41, v3
	flat_load_dword v3, v[40:41]
	s_waitcnt vmcnt(0) lgkmcnt(0)
	v_cmp_ne_u32_e32 vcc, 1, v3
	v_cmp_eq_u32_e64 s[28:29], 1, v3
	s_and_saveexec_b64 s[90:91], s[28:29]
	s_cbranch_execz .LBB6_295
; %bb.294:                              ;   in Loop: Header=BB6_273 Depth=3
	flat_load_dword v3, v[40:41] offset:4 glc
	s_waitcnt vmcnt(0) lgkmcnt(0)
	v_ashrrev_i32_e32 v4, 31, v3
	v_lshrrev_b64 v[36:37], 2, v[3:4]
.LBB6_295:                              ;   in Loop: Header=BB6_273 Depth=3
	s_or_b64 exec, exec, s[90:91]
	s_orn2_b64 s[28:29], vcc, exec
.LBB6_296:                              ;   in Loop: Header=BB6_273 Depth=3
	s_or_b64 exec, exec, s[88:89]
	s_and_saveexec_b64 s[88:89], s[28:29]
	s_cbranch_execz .LBB6_298
; %bb.297:                              ;   in Loop: Header=BB6_273 Depth=3
	v_mul_lo_u32 v3, v55, v58
	v_mul_lo_u32 v4, v54, v59
	v_mad_u64_u32 v[36:37], s[28:29], v54, v58, 0
	v_add3_u32 v37, v37, v4, v3
.LBB6_298:                              ;   in Loop: Header=BB6_273 Depth=3
	s_or_b64 exec, exec, s[88:89]
	v_cmp_eq_u32_e32 vcc, 0, v0
	v_mov_b32_e32 v0, 0xc8
	v_mov_b32_e32 v3, 0x90
	v_cndmask_b32_e32 v0, v0, v3, vcc
	v_lshlrev_b64 v[3:4], 2, v[36:37]
	v_add_u32_e32 v0, v0, v0
	v_add_co_u32_e32 v3, vcc, v28, v3
	v_addc_co_u32_e32 v4, vcc, v29, v4, vcc
	ds_write_b64 v0, v[3:4] offset:584
	v_and_b32_e32 v0, 0x2000, v62
	v_cmp_ne_u32_e32 vcc, 0, v0
	s_and_saveexec_b64 s[28:29], vcc
	s_cbranch_execz .LBB6_300
; %bb.299:                              ;   in Loop: Header=BB6_273 Depth=3
	ds_read_b64 v[3:4], v0 offset:872
	s_waitcnt lgkmcnt(0)
	v_add_co_u32_e32 v3, vcc, 1, v3
	v_addc_co_u32_e32 v4, vcc, 0, v4, vcc
	ds_write_b64 v0, v[3:4] offset:872
.LBB6_300:                              ;   in Loop: Header=BB6_273 Depth=3
	s_or_b64 exec, exec, s[28:29]
	v_mov_b32_e32 v50, v52
	v_mov_b32_e32 v51, v53
.LBB6_301:                              ;   in Loop: Header=BB6_273 Depth=3
	s_or_b64 exec, exec, s[78:79]
	s_and_saveexec_b64 s[28:29], s[10:11]
	s_cbranch_execz .LBB6_320
; %bb.302:                              ;   in Loop: Header=BB6_273 Depth=3
	s_and_saveexec_b64 s[78:79], s[56:57]
	s_xor_b64 s[78:79], exec, s[78:79]
	s_cbranch_execz .LBB6_317
; %bb.303:                              ;   in Loop: Header=BB6_273 Depth=3
	s_and_saveexec_b64 s[88:89], s[16:17]
	s_cbranch_execz .LBB6_316
; %bb.304:                              ;   in Loop: Header=BB6_273 Depth=3
	s_mov_b64 s[92:93], exec
	v_mbcnt_lo_u32_b32 v0, s92, 0
	v_mbcnt_hi_u32_b32 v0, s93, v0
	v_cmp_eq_u32_e32 vcc, 0, v0
	s_waitcnt vmcnt(0) lgkmcnt(0)
	buffer_wbinvl1_vol
	s_and_saveexec_b64 s[90:91], vcc
	s_cbranch_execz .LBB6_306
; %bb.305:                              ;   in Loop: Header=BB6_273 Depth=3
	s_bcnt1_i32_b64 s92, s[92:93]
	v_mov_b32_e32 v3, s92
	v_mov_b32_e32 v4, v23
	ds_add_u64 v0, v[3:4]
	s_trap 2
.LBB6_306:                              ;   in Loop: Header=BB6_273 Depth=3
	s_or_b64 exec, exec, s[90:91]
	s_trap 2
	ds_read_b64 v[3:4], v0
	s_waitcnt lgkmcnt(0)
	v_add_co_u32_e32 v12, vcc, v12, v49
	v_addc_co_u32_e32 v13, vcc, 0, v13, vcc
	v_cmp_lt_u64_e32 vcc, v[3:4], v[12:13]
	s_and_saveexec_b64 s[90:91], vcc
	s_cbranch_execz .LBB6_315
; %bb.307:                              ;   in Loop: Header=BB6_273 Depth=3
	s_mov_b32 s38, 0
	s_mov_b64 s[92:93], 0
                                        ; implicit-def: $sgpr94_sgpr95
                                        ; implicit-def: $sgpr30_sgpr31
	s_branch .LBB6_309
.LBB6_308:                              ;   in Loop: Header=BB6_309 Depth=4
	s_or_b64 exec, exec, s[36:37]
	s_and_b64 vcc, exec, vcc
	s_or_b64 s[92:93], vcc, s[92:93]
	s_andn2_b64 s[94:95], s[94:95], exec
	s_and_b64 vcc, s[30:31], exec
	s_or_b64 s[94:95], s[94:95], vcc
	s_andn2_b64 exec, exec, s[92:93]
	s_cbranch_execz .LBB6_313
.LBB6_309:                              ;   Parent Loop BB6_47 Depth=1
                                        ;     Parent Loop BB6_270 Depth=2
                                        ;       Parent Loop BB6_273 Depth=3
                                        ; =>      This Inner Loop Header: Depth=4
	s_add_i32 s38, s38, 1
	s_cmpk_lg_i32 s38, 0x2710
	s_cselect_b64 s[34:35], -1, 0
	s_and_b64 vcc, exec, s[34:35]
	s_cbranch_vccz .LBB6_311
; %bb.310:                              ;   in Loop: Header=BB6_309 Depth=4
	s_mov_b64 vcc, -1
	s_or_b64 s[30:31], s[30:31], exec
	s_and_saveexec_b64 s[36:37], s[34:35]
	s_cbranch_execz .LBB6_308
	s_branch .LBB6_312
.LBB6_311:                              ;   in Loop: Header=BB6_309 Depth=4
	s_trap 2
	ds_read_b64 v[3:4], v0
	s_andn2_b64 s[34:35], s[34:35], exec
	s_mov_b32 s38, 0
	s_waitcnt lgkmcnt(0)
	flat_load_dword v0, v[3:4] glc
	s_waitcnt vmcnt(0) lgkmcnt(0)
	buffer_wbinvl1_vol
	v_cmp_eq_u32_e32 vcc, 0, v0
	s_and_b64 vcc, vcc, exec
	s_or_b64 s[34:35], s[34:35], vcc
	s_mov_b64 vcc, -1
	s_or_b64 s[30:31], s[30:31], exec
	s_and_saveexec_b64 s[36:37], s[34:35]
	s_cbranch_execz .LBB6_308
.LBB6_312:                              ;   in Loop: Header=BB6_309 Depth=4
	s_sleep 1
	s_trap 2
	ds_read_b64 v[3:4], v0
	s_waitcnt lgkmcnt(0)
	s_andn2_b64 s[30:31], s[30:31], exec
	v_cmp_ge_u64_e32 vcc, v[3:4], v[12:13]
	s_orn2_b64 vcc, vcc, exec
	s_branch .LBB6_308
.LBB6_313:                              ;   in Loop: Header=BB6_273 Depth=3
	s_or_b64 exec, exec, s[92:93]
	s_and_saveexec_b64 s[92:93], s[94:95]
	s_xor_b64 s[92:93], exec, s[92:93]
	s_cbranch_execz .LBB6_315
; %bb.314:                              ;   in Loop: Header=BB6_273 Depth=3
	ds_write_b32 v0, v47
	s_trap 2
.LBB6_315:                              ;   in Loop: Header=BB6_273 Depth=3
	s_or_b64 exec, exec, s[90:91]
	;;#ASMSTART
	s_wakeup
	;;#ASMEND
.LBB6_316:                              ;   in Loop: Header=BB6_273 Depth=3
	s_or_b64 exec, exec, s[88:89]
.LBB6_317:                              ;   in Loop: Header=BB6_273 Depth=3
	s_andn2_saveexec_b64 s[78:79], s[78:79]
	s_cbranch_execz .LBB6_319
; %bb.318:                              ;   in Loop: Header=BB6_273 Depth=3
	s_waitcnt vmcnt(0) lgkmcnt(0)
	buffer_wbinvl1_vol
	s_barrier
.LBB6_319:                              ;   in Loop: Header=BB6_273 Depth=3
	s_or_b64 exec, exec, s[78:79]
.LBB6_320:                              ;   in Loop: Header=BB6_273 Depth=3
	s_or_b64 exec, exec, s[28:29]
	s_trap 2
	ds_read_b32 v0, v0
	v_and_b32_e32 v3, 0x4000, v62
	v_cmp_ne_u32_e32 vcc, 0, v3
	s_xor_b64 s[28:29], s[6:7], -1
	s_and_b64 s[78:79], s[28:29], vcc
	s_and_saveexec_b64 s[28:29], s[78:79]
	s_cbranch_execz .LBB6_339
; %bb.321:                              ;   in Loop: Header=BB6_273 Depth=3
	s_and_saveexec_b64 s[78:79], s[56:57]
	s_xor_b64 s[78:79], exec, s[78:79]
	s_cbranch_execz .LBB6_336
; %bb.322:                              ;   in Loop: Header=BB6_273 Depth=3
	s_and_saveexec_b64 s[88:89], s[16:17]
	s_cbranch_execz .LBB6_335
; %bb.323:                              ;   in Loop: Header=BB6_273 Depth=3
	s_mov_b64 s[92:93], exec
	v_mbcnt_lo_u32_b32 v3, s92, 0
	v_mbcnt_hi_u32_b32 v3, s93, v3
	v_cmp_eq_u32_e32 vcc, 0, v3
	s_waitcnt vmcnt(0) lgkmcnt(0)
	buffer_wbinvl1_vol
	s_and_saveexec_b64 s[90:91], vcc
	s_cbranch_execz .LBB6_325
; %bb.324:                              ;   in Loop: Header=BB6_273 Depth=3
	s_bcnt1_i32_b64 s92, s[92:93]
	v_mov_b32_e32 v3, s92
	v_mov_b32_e32 v4, v23
	ds_add_u64 v0, v[3:4]
	s_trap 2
.LBB6_325:                              ;   in Loop: Header=BB6_273 Depth=3
	s_or_b64 exec, exec, s[90:91]
	s_trap 2
	ds_read_b64 v[3:4], v0
	s_waitcnt lgkmcnt(0)
	v_add_co_u32_e32 v12, vcc, v12, v49
	v_addc_co_u32_e32 v13, vcc, 0, v13, vcc
	v_cmp_lt_u64_e32 vcc, v[3:4], v[12:13]
	s_and_saveexec_b64 s[90:91], vcc
	s_cbranch_execz .LBB6_334
; %bb.326:                              ;   in Loop: Header=BB6_273 Depth=3
	s_mov_b32 s38, 0
	s_mov_b64 s[92:93], 0
                                        ; implicit-def: $sgpr94_sgpr95
                                        ; implicit-def: $sgpr30_sgpr31
	s_branch .LBB6_328
.LBB6_327:                              ;   in Loop: Header=BB6_328 Depth=4
	s_or_b64 exec, exec, s[36:37]
	s_and_b64 vcc, exec, vcc
	s_or_b64 s[92:93], vcc, s[92:93]
	s_andn2_b64 s[94:95], s[94:95], exec
	s_and_b64 vcc, s[30:31], exec
	s_or_b64 s[94:95], s[94:95], vcc
	s_andn2_b64 exec, exec, s[92:93]
	s_cbranch_execz .LBB6_332
.LBB6_328:                              ;   Parent Loop BB6_47 Depth=1
                                        ;     Parent Loop BB6_270 Depth=2
                                        ;       Parent Loop BB6_273 Depth=3
                                        ; =>      This Inner Loop Header: Depth=4
	s_add_i32 s38, s38, 1
	s_cmpk_lg_i32 s38, 0x2710
	s_cselect_b64 s[34:35], -1, 0
	s_and_b64 vcc, exec, s[34:35]
	s_cbranch_vccz .LBB6_330
; %bb.329:                              ;   in Loop: Header=BB6_328 Depth=4
	s_mov_b64 vcc, -1
	s_or_b64 s[30:31], s[30:31], exec
	s_and_saveexec_b64 s[36:37], s[34:35]
	s_cbranch_execz .LBB6_327
	s_branch .LBB6_331
.LBB6_330:                              ;   in Loop: Header=BB6_328 Depth=4
	s_trap 2
	ds_read_b64 v[3:4], v0
	s_andn2_b64 s[34:35], s[34:35], exec
	s_mov_b32 s38, 0
	s_waitcnt lgkmcnt(0)
	flat_load_dword v3, v[3:4] glc
	s_waitcnt vmcnt(0) lgkmcnt(0)
	buffer_wbinvl1_vol
	v_cmp_eq_u32_e32 vcc, 0, v3
	s_and_b64 vcc, vcc, exec
	s_or_b64 s[34:35], s[34:35], vcc
	s_mov_b64 vcc, -1
	s_or_b64 s[30:31], s[30:31], exec
	s_and_saveexec_b64 s[36:37], s[34:35]
	s_cbranch_execz .LBB6_327
.LBB6_331:                              ;   in Loop: Header=BB6_328 Depth=4
	s_sleep 1
	s_trap 2
	ds_read_b64 v[3:4], v0
	s_waitcnt lgkmcnt(0)
	s_andn2_b64 s[30:31], s[30:31], exec
	v_cmp_ge_u64_e32 vcc, v[3:4], v[12:13]
	s_orn2_b64 vcc, vcc, exec
	s_branch .LBB6_327
.LBB6_332:                              ;   in Loop: Header=BB6_273 Depth=3
	s_or_b64 exec, exec, s[92:93]
	s_and_saveexec_b64 s[92:93], s[94:95]
	s_xor_b64 s[92:93], exec, s[92:93]
	s_cbranch_execz .LBB6_334
; %bb.333:                              ;   in Loop: Header=BB6_273 Depth=3
	ds_write_b32 v0, v47
	s_trap 2
.LBB6_334:                              ;   in Loop: Header=BB6_273 Depth=3
	s_or_b64 exec, exec, s[90:91]
	;;#ASMSTART
	s_wakeup
	;;#ASMEND
.LBB6_335:                              ;   in Loop: Header=BB6_273 Depth=3
	s_or_b64 exec, exec, s[88:89]
.LBB6_336:                              ;   in Loop: Header=BB6_273 Depth=3
	s_andn2_saveexec_b64 s[78:79], s[78:79]
	s_cbranch_execz .LBB6_338
; %bb.337:                              ;   in Loop: Header=BB6_273 Depth=3
	s_waitcnt vmcnt(0) lgkmcnt(0)
	buffer_wbinvl1_vol
	s_barrier
.LBB6_338:                              ;   in Loop: Header=BB6_273 Depth=3
	s_or_b64 exec, exec, s[78:79]
.LBB6_339:                              ;   in Loop: Header=BB6_273 Depth=3
	s_or_b64 exec, exec, s[28:29]
	s_trap 2
	s_waitcnt lgkmcnt(0)
	ds_read_b64 v[52:53], v0
	s_waitcnt lgkmcnt(0)
	v_cmp_eq_u64_e32 vcc, 0, v[52:53]
	s_cbranch_vccnz .LBB6_347
; %bb.340:                              ;   in Loop: Header=BB6_273 Depth=3
	s_trap 2
	ds_read_b64 v[54:55], v0
	s_waitcnt lgkmcnt(0)
	v_cmp_eq_u64_e32 vcc, 0, v[54:55]
	s_cbranch_vccnz .LBB6_347
; %bb.341:                              ;   in Loop: Header=BB6_273 Depth=3
	s_mov_b64 s[28:29], -1
	s_and_saveexec_b64 s[78:79], s[22:23]
	s_cbranch_execz .LBB6_343
; %bb.342:                              ;   in Loop: Header=BB6_273 Depth=3
	ds_read_b32 v3, v0 offset:720
	s_waitcnt lgkmcnt(0)
	v_and_b32_e32 v3, 15, v3
	v_cmp_eq_u32_e32 vcc, 0, v3
	s_orn2_b64 s[28:29], vcc, exec
.LBB6_343:                              ;   in Loop: Header=BB6_273 Depth=3
	s_or_b64 exec, exec, s[78:79]
	s_and_saveexec_b64 s[78:79], s[20:21]
	s_cbranch_execz .LBB6_345
; %bb.344:                              ;   in Loop: Header=BB6_273 Depth=3
	ds_read_b32 v3, v0 offset:784
	s_waitcnt lgkmcnt(0)
	v_and_b32_e32 v3, 15, v3
	v_cmp_eq_u32_e32 vcc, 0, v3
	s_and_b64 s[88:89], s[28:29], vcc
	s_andn2_b64 s[28:29], s[28:29], exec
	s_and_b64 s[88:89], s[88:89], exec
	s_or_b64 s[28:29], s[28:29], s[88:89]
.LBB6_345:                              ;   in Loop: Header=BB6_273 Depth=3
	s_or_b64 exec, exec, s[78:79]
	v_cmp_eq_u32_e32 vcc, 0, v0
	s_xor_b64 s[28:29], s[28:29], -1
	v_cndmask_b32_e32 v3, 0, v8, vcc
	v_cndmask_b32_e64 v0, 0, 1, s[28:29]
	v_lshlrev_b32_e32 v9, 2, v3
	s_mov_b64 s[88:89], -1
	v_cmp_ne_u32_e32 vcc, 0, v0
	v_mov_b32_e32 v0, 0
	s_cbranch_vccz .LBB6_352
; %bb.346:                              ;   in Loop: Header=BB6_273 Depth=3
	buffer_load_dword v48, off, s[0:3], s33 offset:80 ; 4-byte Folded Reload
	v_mov_b32_e32 v11, v32
	s_and_saveexec_b64 s[28:29], s[88:89]
	s_cbranch_execnz .LBB6_365
	s_branch .LBB6_373
.LBB6_347:                              ;   in Loop: Header=BB6_273 Depth=3
	s_mov_b64 s[28:29], 0
	s_and_saveexec_b64 s[78:79], s[10:11]
	s_cbranch_execnz .LBB6_374
.LBB6_348:                              ;   in Loop: Header=BB6_273 Depth=3
	s_or_b64 exec, exec, s[78:79]
                                        ; implicit-def: $vgpr0
	s_and_saveexec_b64 s[78:79], s[24:25]
	s_xor_b64 s[78:79], exec, s[78:79]
	s_cbranch_execz .LBB6_392
.LBB6_349:                              ;   in Loop: Header=BB6_273 Depth=3
	v_and_b32_e32 v3, 16, v62
	v_cmp_ne_u32_e32 vcc, 0, v3
	v_and_b32_e32 v0, 16, v62
	s_and_b64 s[88:89], vcc, s[28:29]
	s_and_saveexec_b64 s[28:29], s[88:89]
	s_cbranch_execz .LBB6_351
; %bb.350:                              ;   in Loop: Header=BB6_273 Depth=3
	v_mov_b32_e32 v0, 1
	s_waitcnt vmcnt(0) lgkmcnt(0)
	buffer_wbinvl1_vol
.LBB6_351:                              ;   in Loop: Header=BB6_273 Depth=3
	s_or_b64 exec, exec, s[28:29]
	s_andn2_saveexec_b64 s[28:29], s[78:79]
	s_cbranch_execz .LBB6_411
	s_branch .LBB6_393
.LBB6_352:                              ;   in Loop: Header=BB6_273 Depth=3
	buffer_load_dword v4, off, s[0:3], s33 offset:80 ; 4-byte Folded Reload
	v_ashrrev_i32_e32 v0, 31, v9
	v_lshrrev_b32_e32 v0, 20, v0
	v_add_u32_e32 v0, v9, v0
	v_ashrrev_i32_e32 v0, 12, v0
	s_waitcnt vmcnt(0)
	v_sub_u32_e32 v34, v0, v4
	v_cmp_lt_i32_e32 vcc, 0, v34
	s_and_saveexec_b64 s[28:29], vcc
	s_cbranch_execz .LBB6_356
; %bb.353:                              ;   in Loop: Header=BB6_273 Depth=3
	s_trap 2
	buffer_load_dword v39, off, s[0:3], s33 offset:132 ; 4-byte Folded Reload
	ds_read_b64 v[4:5], v0
	v_add_co_u32_e32 v40, vcc, v52, v25
	v_addc_co_u32_e32 v41, vcc, v53, v45, vcc
	s_waitcnt lgkmcnt(0)
	v_add_co_u32_e32 v42, vcc, v4, v25
	v_addc_co_u32_e32 v43, vcc, v5, v45, vcc
	v_mov_b32_e32 v1, v50
	v_add_co_u32_e32 v44, vcc, v54, v25
	v_mov_b32_e32 v2, v51
	v_mov_b32_e32 v11, v23
	v_addc_co_u32_e32 v45, vcc, v55, v45, vcc
	s_mov_b64 s[78:79], 0
	v_mov_b32_e32 v33, v49
.LBB6_354:                              ;   Parent Loop BB6_47 Depth=1
                                        ;     Parent Loop BB6_270 Depth=2
                                        ;       Parent Loop BB6_273 Depth=3
                                        ; =>      This Inner Loop Header: Depth=4
	global_load_dwordx4 v[4:7], v[42:43], off glc slc
	global_load_dwordx4 v[14:17], v[40:41], off glc slc
	global_load_dwordx4 v[22:25], v[40:41], off offset:1024 glc slc
	global_load_dwordx4 v[28:31], v[42:43], off offset:1024 glc slc
	;; [unrolled: 1-line block ×6, first 2 shown]
	s_waitcnt vmcnt(8)
	v_add_co_u32_e32 v40, vcc, v40, v39
	v_addc_co_u32_e32 v41, vcc, 0, v41, vcc
	v_add_co_u32_e32 v42, vcc, v42, v39
	v_addc_co_u32_e32 v43, vcc, 0, v43, vcc
	v_sub_u32_e32 v34, v34, v33
	v_cmp_gt_i32_e32 vcc, 1, v34
	s_or_b64 s[78:79], vcc, s[78:79]
	s_waitcnt vmcnt(6)
	v_mul_f32_e32 v4, v14, v4
	v_mul_f32_e32 v5, v15, v5
	v_mul_f32_e32 v6, v16, v6
	v_mul_f32_e32 v7, v17, v7
	s_waitcnt vmcnt(4)
	v_mul_f32_e32 v14, v22, v28
	v_mul_f32_e32 v15, v23, v29
	v_mul_f32_e32 v16, v24, v30
	v_mul_f32_e32 v17, v25, v31
	;; [unrolled: 5-line block ×4, first 2 shown]
	global_store_dwordx4 v[44:45], v[4:7], off glc slc
	global_store_dwordx4 v[44:45], v[14:17], off offset:1024 glc slc
	global_store_dwordx4 v[44:45], v[22:25], off offset:2048 glc slc
	;; [unrolled: 1-line block ×3, first 2 shown]
	v_add_co_u32_e32 v44, vcc, v44, v39
	v_addc_co_u32_e32 v45, vcc, 0, v45, vcc
	s_andn2_b64 exec, exec, s[78:79]
	s_cbranch_execnz .LBB6_354
; %bb.355:                              ;   in Loop: Header=BB6_273 Depth=3
	s_or_b64 exec, exec, s[78:79]
	buffer_load_dword v19, off, s[0:3], s33 offset:144 ; 4-byte Folded Reload
	buffer_load_dword v20, off, s[0:3], s33 offset:148 ; 4-byte Folded Reload
	buffer_load_dword v21, off, s[0:3], s33 offset:152 ; 4-byte Folded Reload
	buffer_load_dword v22, off, s[0:3], s33 offset:156 ; 4-byte Folded Reload
	buffer_load_dword v58, off, s[0:3], s33 offset:200 ; 4-byte Folded Reload
	buffer_load_dword v28, off, s[0:3], s33 offset:164 ; 4-byte Folded Reload
	buffer_load_dword v29, off, s[0:3], s33 offset:168 ; 4-byte Folded Reload
	buffer_load_dword v30, off, s[0:3], s33 offset:172 ; 4-byte Folded Reload
	buffer_load_dword v31, off, s[0:3], s33 offset:176 ; 4-byte Folded Reload
	buffer_load_dword v59, off, s[0:3], s33 offset:204 ; 4-byte Folded Reload
	buffer_load_dword v24, off, s[0:3], s33 offset:88 ; 4-byte Folded Reload
	buffer_load_dword v16, off, s[0:3], s33 offset:136 ; 4-byte Folded Reload
	buffer_load_dword v17, off, s[0:3], s33 offset:140 ; 4-byte Folded Reload
	buffer_load_dword v43, off, s[0:3], s33 offset:60 ; 4-byte Folded Reload
	buffer_load_dword v25, off, s[0:3], s33 offset:104 ; 4-byte Folded Reload
	buffer_load_dword v45, off, s[0:3], s33 offset:108 ; 4-byte Folded Reload
	buffer_load_dword v56, off, s[0:3], s33 offset:120 ; 4-byte Folded Reload
	buffer_load_dword v57, off, s[0:3], s33 offset:124 ; 4-byte Folded Reload
	v_mov_b32_e32 v51, v2
	v_mov_b32_e32 v23, v11
	;; [unrolled: 1-line block ×4, first 2 shown]
.LBB6_356:                              ;   in Loop: Header=BB6_273 Depth=3
	s_or_b64 exec, exec, s[28:29]
	v_lshlrev_b32_e32 v35, 12, v0
	v_cmp_ne_u32_e32 vcc, v9, v35
	s_mov_b64 s[88:89], 0
	v_mov_b32_e32 v0, 0
                                        ; implicit-def: $vgpr11
                                        ; implicit-def: $vgpr48
	s_and_saveexec_b64 s[78:79], vcc
	s_cbranch_execz .LBB6_364
; %bb.357:                              ;   in Loop: Header=BB6_273 Depth=3
	buffer_load_dword v5, off, s[0:3], s33 offset:180 ; 4-byte Folded Reload
	v_lshlrev_b32_e32 v0, 6, v34
	v_sub_u32_e32 v4, v9, v35
	s_waitcnt vmcnt(0)
	v_sub_u32_e32 v0, v5, v0
	v_ashrrev_i32_e32 v5, 31, v0
	v_lshrrev_b32_e32 v5, 26, v5
	v_add_u32_e32 v5, v0, v5
	v_ashrrev_i32_e32 v6, 6, v5
	v_and_b32_e32 v5, 0xffffffc0, v5
	v_sub_u32_e32 v34, v0, v5
	v_ashrrev_i32_e32 v5, 31, v4
	v_lshrrev_b32_e32 v5, 22, v5
	v_add_u32_e32 v5, v4, v5
	v_and_b32_e32 v14, 0xfffffc00, v5
	v_lshlrev_b32_e32 v0, 4, v34
	v_sub_u32_e32 v39, v4, v14
	v_lshl_add_u32 v11, v6, 10, v0
	v_ashrrev_i32_e32 v7, 10, v5
	v_cmp_lt_i32_e32 vcc, 15, v39
	v_sub_u32_e32 v0, v4, v11
	v_addc_co_u32_e64 v4, s[28:29], 0, v7, vcc
	v_sub_u32_e32 v38, v4, v6
	v_cmp_lt_i32_e64 s[28:29], 15, v0
	s_and_saveexec_b64 s[88:89], s[28:29]
	s_cbranch_execz .LBB6_361
; %bb.358:                              ;   in Loop: Header=BB6_273 Depth=3
	s_trap 2
	ds_read_b64 v[4:5], v0
	v_add_u32_e32 v6, v11, v35
	v_ashrrev_i32_e32 v7, 31, v6
	v_add_co_u32_e64 v40, s[28:29], v6, v52
	v_addc_co_u32_e64 v41, s[28:29], v7, v53, s[28:29]
	s_waitcnt lgkmcnt(0)
	v_add_co_u32_e64 v42, s[28:29], v4, v6
	v_addc_co_u32_e64 v43, s[28:29], v5, v7, s[28:29]
	v_add_co_u32_e64 v44, s[28:29], v6, v54
	v_addc_co_u32_e64 v45, s[28:29], v7, v55, s[28:29]
	s_mov_b64 s[90:91], 0
.LBB6_359:                              ;   Parent Loop BB6_47 Depth=1
                                        ;     Parent Loop BB6_270 Depth=2
                                        ;       Parent Loop BB6_273 Depth=3
                                        ; =>      This Inner Loop Header: Depth=4
	global_load_dwordx4 v[4:7], v[40:41], off glc slc
	global_load_dwordx4 v[15:18], v[42:43], off glc slc
	v_add_co_u32_e64 v40, s[28:29], v40, v24
	v_addc_co_u32_e64 v41, s[28:29], 0, v41, s[28:29]
	v_add_co_u32_e64 v42, s[28:29], v42, v24
	v_addc_co_u32_e64 v43, s[28:29], 0, v43, s[28:29]
	v_sub_u32_e32 v0, v0, v24
	v_cmp_gt_i32_e64 s[28:29], 16, v0
	s_or_b64 s[90:91], s[28:29], s[90:91]
	v_sub_u32_e32 v38, v38, v49
	s_waitcnt vmcnt(0)
	v_mul_f32_e32 v4, v4, v15
	v_mul_f32_e32 v5, v5, v16
	;; [unrolled: 1-line block ×4, first 2 shown]
	global_store_dwordx4 v[44:45], v[4:7], off glc slc
	v_add_co_u32_e64 v44, s[28:29], v44, v24
	v_addc_co_u32_e64 v45, s[28:29], 0, v45, s[28:29]
	s_andn2_b64 exec, exec, s[90:91]
	s_cbranch_execnz .LBB6_359
; %bb.360:                              ;   in Loop: Header=BB6_273 Depth=3
	s_or_b64 exec, exec, s[90:91]
	buffer_load_dword v16, off, s[0:3], s33 offset:136 ; 4-byte Folded Reload
	buffer_load_dword v17, off, s[0:3], s33 offset:140 ; 4-byte Folded Reload
	;; [unrolled: 1-line block ×5, first 2 shown]
.LBB6_361:                              ;   in Loop: Header=BB6_273 Depth=3
	s_or_b64 exec, exec, s[88:89]
	v_and_b32_e32 v49, 12, v9
	v_cndmask_b32_e32 v9, v39, v49, vcc
	v_mov_b32_e32 v0, 0
	v_cmp_ne_u32_e64 s[28:29], 0, v9
	s_mov_b64 s[90:91], 0
                                        ; implicit-def: $vgpr11
                                        ; implicit-def: $vgpr48
	s_and_saveexec_b64 s[88:89], s[28:29]
	s_cbranch_execz .LBB6_363
; %bb.362:                              ;   in Loop: Header=BB6_273 Depth=3
	buffer_load_dword v4, off, s[0:3], s33 offset:84 ; 4-byte Folded Reload
	v_sub_u32_e32 v0, v39, v49
	v_cndmask_b32_e32 v0, 0, v0, vcc
	v_cmp_lt_i32_e32 vcc, 0, v38
	v_add3_u32 v0, v14, v35, v0
	s_mov_b64 s[90:91], exec
	s_waitcnt vmcnt(0)
	v_cndmask_b32_e32 v4, 0, v4, vcc
	v_sub_u32_e32 v4, v4, v38
	v_lshl_add_u32 v11, v4, 6, v34
	v_ashrrev_i32_e32 v4, 31, v11
	v_lshrrev_b32_e32 v4, 26, v4
	v_add_u32_e32 v4, v11, v4
	v_ashrrev_i32_e32 v48, 6, v4
.LBB6_363:                              ;   in Loop: Header=BB6_273 Depth=3
	s_or_b64 exec, exec, s[88:89]
	buffer_load_dword v49, off, s[0:3], s33 offset:84 ; 4-byte Folded Reload
	s_and_b64 s[88:89], s[90:91], exec
.LBB6_364:                              ;   in Loop: Header=BB6_273 Depth=3
	s_or_b64 exec, exec, s[78:79]
	s_and_saveexec_b64 s[28:29], s[88:89]
	s_cbranch_execz .LBB6_373
.LBB6_365:                              ;   in Loop: Header=BB6_273 Depth=3
	v_ashrrev_i32_e32 v4, 31, v9
	v_lshrrev_b32_e32 v4, 21, v4
	v_add_u32_e32 v4, v9, v4
	v_ashrrev_i32_e32 v38, 11, v4
	s_waitcnt vmcnt(0)
	v_sub_u32_e32 v34, v38, v48
	v_ashrrev_i32_e32 v4, 31, v11
	v_cmp_lt_i32_e32 vcc, 0, v34
	v_lshrrev_b32_e32 v35, 26, v4
	s_and_saveexec_b64 s[78:79], vcc
	s_cbranch_execz .LBB6_369
; %bb.366:                              ;   in Loop: Header=BB6_273 Depth=3
	s_trap 2
	buffer_load_dword v36, off, s[0:3], s33 offset:160 ; 4-byte Folded Reload
	v_add_u32_e32 v4, v11, v35
	v_and_b32_e32 v4, 0x3fffffc0, v4
	v_sub_u32_e32 v4, v11, v4
	v_lshlrev_b32_e32 v4, 2, v4
	v_lshlrev_b32_e32 v5, 11, v48
	v_add3_u32 v6, v4, v0, v5
	ds_read_b64 v[4:5], v0
	v_ashrrev_i32_e32 v7, 31, v6
	v_add_co_u32_e32 v40, vcc, v6, v52
	v_addc_co_u32_e32 v41, vcc, v7, v53, vcc
	s_waitcnt lgkmcnt(0)
	v_add_co_u32_e32 v42, vcc, v4, v6
	v_addc_co_u32_e32 v43, vcc, v5, v7, vcc
	v_add_co_u32_e32 v4, vcc, 0x700, v54
	v_addc_co_u32_e32 v5, vcc, 0, v55, vcc
	v_add_co_u32_e32 v44, vcc, v4, v6
	v_mov_b32_e32 v33, v23
	v_addc_co_u32_e32 v45, vcc, v5, v7, vcc
	s_mov_b64 s[88:89], 0
.LBB6_367:                              ;   Parent Loop BB6_47 Depth=1
                                        ;     Parent Loop BB6_270 Depth=2
                                        ;       Parent Loop BB6_273 Depth=3
                                        ; =>      This Inner Loop Header: Depth=4
	flat_load_dword v4, v[40:41] glc slc
	flat_load_dword v5, v[40:41] offset:256 glc slc
	flat_load_dword v6, v[40:41] offset:512 glc slc
	;; [unrolled: 1-line block ×7, first 2 shown]
	flat_load_dword v18, v[42:43] glc slc
	flat_load_dword v19, v[42:43] offset:256 glc slc
	flat_load_dword v20, v[42:43] offset:512 glc slc
	;; [unrolled: 1-line block ×7, first 2 shown]
	v_sub_u32_e32 v34, v34, v49
	s_waitcnt vmcnt(0) lgkmcnt(0)
	v_mul_f32_e32 v18, v4, v18
	v_add_co_u32_e32 v4, vcc, s66, v44
	v_mul_f32_e32 v19, v5, v19
	v_addc_co_u32_e32 v5, vcc, -1, v45, vcc
	flat_store_dword v[4:5], v18 glc slc
	v_add_co_u32_e32 v4, vcc, s67, v44
	v_addc_co_u32_e32 v5, vcc, -1, v45, vcc
	flat_store_dword v[4:5], v19 glc slc
	v_add_co_u32_e32 v4, vcc, s85, v44
	v_mul_f32_e32 v6, v6, v20
	v_addc_co_u32_e32 v5, vcc, -1, v45, vcc
	flat_store_dword v[4:5], v6 glc slc
	v_add_co_u32_e32 v4, vcc, s54, v44
	v_mul_f32_e32 v7, v7, v21
	;; [unrolled: 4-line block ×4, first 2 shown]
	v_addc_co_u32_e32 v5, vcc, -1, v45, vcc
	flat_store_dword v[4:5], v15 glc slc
	v_add_co_u32_e32 v4, vcc, s55, v44
	v_addc_co_u32_e32 v5, vcc, -1, v45, vcc
	v_add_co_u32_e32 v40, vcc, v40, v36
	v_addc_co_u32_e32 v41, vcc, 0, v41, vcc
	v_add_co_u32_e32 v42, vcc, v42, v36
	v_mul_f32_e32 v16, v16, v24
	v_addc_co_u32_e32 v43, vcc, 0, v43, vcc
	v_mul_f32_e32 v17, v17, v25
	flat_store_dword v[4:5], v16 glc slc
	flat_store_dword v[44:45], v17 glc slc
	v_add_co_u32_e32 v44, vcc, v44, v36
	v_addc_co_u32_e32 v45, vcc, 0, v45, vcc
	v_cmp_gt_i32_e32 vcc, 1, v34
	s_or_b64 s[88:89], vcc, s[88:89]
	s_andn2_b64 exec, exec, s[88:89]
	s_cbranch_execnz .LBB6_367
; %bb.368:                              ;   in Loop: Header=BB6_273 Depth=3
	s_or_b64 exec, exec, s[88:89]
	buffer_load_dword v19, off, s[0:3], s33 offset:144 ; 4-byte Folded Reload
	buffer_load_dword v20, off, s[0:3], s33 offset:148 ; 4-byte Folded Reload
	;; [unrolled: 1-line block ×10, first 2 shown]
	v_mov_b32_e32 v23, v33
.LBB6_369:                              ;   in Loop: Header=BB6_273 Depth=3
	s_or_b64 exec, exec, s[78:79]
	v_lshlrev_b32_e32 v14, 11, v38
	v_cmp_ne_u32_e32 vcc, v9, v14
	s_and_b64 exec, exec, vcc
	s_cbranch_execz .LBB6_373
; %bb.370:                              ;   in Loop: Header=BB6_273 Depth=3
	v_add_u32_e32 v4, v11, v35
	v_and_b32_e32 v4, 0xffffffc0, v4
	v_sub_u32_e32 v4, v11, v4
	v_lshlrev_b32_e32 v5, 6, v34
	v_sub_u32_e32 v4, v4, v5
	v_ashrrev_i32_e32 v5, 31, v4
	v_lshrrev_b32_e32 v5, 26, v5
	v_add_u32_e32 v5, v4, v5
	v_and_b32_e32 v6, 0x3fffffc0, v5
	v_sub_u32_e32 v4, v4, v6
	v_lshlrev_b32_e32 v5, 2, v5
	v_and_b32_e32 v5, 0xffffff00, v5
	v_lshlrev_b32_e32 v4, 2, v4
	v_add3_u32 v11, v5, v4, v14
	v_sub_u32_e32 v9, v9, v11
	v_cmp_lt_i32_e32 vcc, 3, v9
	s_and_b64 exec, exec, vcc
	s_cbranch_execz .LBB6_373
; %bb.371:                              ;   in Loop: Header=BB6_273 Depth=3
	v_add_u32_e32 v0, v11, v0
	s_trap 2
	ds_read_b64 v[4:5], v0
	v_ashrrev_i32_e32 v6, 31, v0
	v_add_co_u32_e32 v52, vcc, v0, v52
	v_addc_co_u32_e32 v53, vcc, v6, v53, vcc
	s_waitcnt lgkmcnt(0)
	v_add_co_u32_e32 v40, vcc, v4, v0
	v_addc_co_u32_e32 v41, vcc, v5, v6, vcc
	v_add_co_u32_e32 v54, vcc, v0, v54
	v_addc_co_u32_e32 v55, vcc, v6, v55, vcc
	s_mov_b64 s[78:79], 0
.LBB6_372:                              ;   Parent Loop BB6_47 Depth=1
                                        ;     Parent Loop BB6_270 Depth=2
                                        ;       Parent Loop BB6_273 Depth=3
                                        ; =>      This Inner Loop Header: Depth=4
	flat_load_dword v0, v[52:53] glc slc
	flat_load_dword v4, v[40:41] glc slc
	s_waitcnt vmcnt(0)
	v_add_co_u32_e32 v52, vcc, v52, v16
	v_addc_co_u32_e32 v53, vcc, 0, v53, vcc
	v_add_co_u32_e32 v40, vcc, v40, v16
	v_addc_co_u32_e32 v41, vcc, 0, v41, vcc
	v_sub_u32_e32 v9, v9, v16
	v_cmp_gt_i32_e32 vcc, 4, v9
	s_or_b64 s[78:79], vcc, s[78:79]
	s_waitcnt lgkmcnt(0)
	v_mul_f32_e32 v0, v0, v4
	flat_store_dword v[54:55], v0 glc slc
	v_add_co_u32_e32 v54, vcc, v54, v16
	v_addc_co_u32_e32 v55, vcc, 0, v55, vcc
	s_andn2_b64 exec, exec, s[78:79]
	s_cbranch_execnz .LBB6_372
.LBB6_373:                              ;   in Loop: Header=BB6_273 Depth=3
	s_or_b64 exec, exec, s[28:29]
	buffer_load_dword v18, off, s[0:3], s33 offset:128 ; 4-byte Folded Reload
	buffer_load_dword v48, off, s[0:3], s33 offset:92 ; 4-byte Folded Reload
	v_cmp_lt_i32_e64 s[28:29], 0, v3
	s_and_saveexec_b64 s[78:79], s[10:11]
	s_cbranch_execz .LBB6_348
.LBB6_374:                              ;   in Loop: Header=BB6_273 Depth=3
	s_and_saveexec_b64 s[88:89], s[56:57]
	s_xor_b64 s[88:89], exec, s[88:89]
	s_cbranch_execz .LBB6_389
; %bb.375:                              ;   in Loop: Header=BB6_273 Depth=3
	s_and_saveexec_b64 s[90:91], s[16:17]
	s_cbranch_execz .LBB6_388
; %bb.376:                              ;   in Loop: Header=BB6_273 Depth=3
	s_mov_b64 s[94:95], exec
	v_mbcnt_lo_u32_b32 v0, s94, 0
	v_mbcnt_hi_u32_b32 v0, s95, v0
	v_cmp_eq_u32_e32 vcc, 0, v0
	s_waitcnt vmcnt(0) lgkmcnt(0)
	buffer_wbinvl1_vol
	s_and_saveexec_b64 s[92:93], vcc
	s_cbranch_execz .LBB6_378
; %bb.377:                              ;   in Loop: Header=BB6_273 Depth=3
	s_bcnt1_i32_b64 s94, s[94:95]
	v_mov_b32_e32 v3, s94
	v_mov_b32_e32 v4, v23
	ds_add_u64 v0, v[3:4]
	s_trap 2
.LBB6_378:                              ;   in Loop: Header=BB6_273 Depth=3
	s_or_b64 exec, exec, s[92:93]
	s_trap 2
	ds_read_b64 v[3:4], v0
	s_waitcnt lgkmcnt(0)
	v_add_co_u32_e32 v12, vcc, v12, v49
	v_addc_co_u32_e32 v13, vcc, 0, v13, vcc
	v_cmp_lt_u64_e32 vcc, v[3:4], v[12:13]
	s_and_saveexec_b64 s[92:93], vcc
	s_cbranch_execz .LBB6_387
; %bb.379:                              ;   in Loop: Header=BB6_273 Depth=3
	s_mov_b32 s48, 0
	s_mov_b64 s[94:95], 0
                                        ; implicit-def: $sgpr30_sgpr31
                                        ; implicit-def: $sgpr34_sgpr35
	s_branch .LBB6_381
.LBB6_380:                              ;   in Loop: Header=BB6_381 Depth=4
	s_or_b64 exec, exec, s[38:39]
	s_and_b64 vcc, exec, vcc
	s_or_b64 s[94:95], vcc, s[94:95]
	s_andn2_b64 vcc, s[30:31], exec
	s_and_b64 s[30:31], s[34:35], exec
	s_or_b64 s[30:31], vcc, s[30:31]
	s_andn2_b64 exec, exec, s[94:95]
	s_cbranch_execz .LBB6_385
.LBB6_381:                              ;   Parent Loop BB6_47 Depth=1
                                        ;     Parent Loop BB6_270 Depth=2
                                        ;       Parent Loop BB6_273 Depth=3
                                        ; =>      This Inner Loop Header: Depth=4
	s_add_i32 s48, s48, 1
	s_cmpk_lg_i32 s48, 0x2710
	s_cselect_b64 s[36:37], -1, 0
	s_and_b64 vcc, exec, s[36:37]
	s_cbranch_vccz .LBB6_383
; %bb.382:                              ;   in Loop: Header=BB6_381 Depth=4
	s_mov_b64 vcc, -1
	s_or_b64 s[34:35], s[34:35], exec
	s_and_saveexec_b64 s[38:39], s[36:37]
	s_cbranch_execz .LBB6_380
	s_branch .LBB6_384
.LBB6_383:                              ;   in Loop: Header=BB6_381 Depth=4
	s_trap 2
	ds_read_b64 v[3:4], v0
	s_andn2_b64 s[36:37], s[36:37], exec
	s_mov_b32 s48, 0
	s_waitcnt lgkmcnt(0)
	flat_load_dword v0, v[3:4] glc
	s_waitcnt vmcnt(0) lgkmcnt(0)
	buffer_wbinvl1_vol
	v_cmp_eq_u32_e32 vcc, 0, v0
	s_and_b64 vcc, vcc, exec
	s_or_b64 s[36:37], s[36:37], vcc
	s_mov_b64 vcc, -1
	s_or_b64 s[34:35], s[34:35], exec
	s_and_saveexec_b64 s[38:39], s[36:37]
	s_cbranch_execz .LBB6_380
.LBB6_384:                              ;   in Loop: Header=BB6_381 Depth=4
	s_sleep 1
	s_trap 2
	ds_read_b64 v[3:4], v0
	s_waitcnt lgkmcnt(0)
	s_andn2_b64 s[34:35], s[34:35], exec
	v_cmp_ge_u64_e32 vcc, v[3:4], v[12:13]
	s_orn2_b64 vcc, vcc, exec
	s_branch .LBB6_380
.LBB6_385:                              ;   in Loop: Header=BB6_273 Depth=3
	s_or_b64 exec, exec, s[94:95]
	s_and_saveexec_b64 s[94:95], s[30:31]
	s_xor_b64 s[94:95], exec, s[94:95]
	s_cbranch_execz .LBB6_387
; %bb.386:                              ;   in Loop: Header=BB6_273 Depth=3
	ds_write_b32 v0, v47
	s_trap 2
.LBB6_387:                              ;   in Loop: Header=BB6_273 Depth=3
	s_or_b64 exec, exec, s[92:93]
	;;#ASMSTART
	s_wakeup
	;;#ASMEND
.LBB6_388:                              ;   in Loop: Header=BB6_273 Depth=3
	s_or_b64 exec, exec, s[90:91]
.LBB6_389:                              ;   in Loop: Header=BB6_273 Depth=3
	s_andn2_saveexec_b64 s[88:89], s[88:89]
	s_cbranch_execz .LBB6_391
; %bb.390:                              ;   in Loop: Header=BB6_273 Depth=3
	s_waitcnt vmcnt(0) lgkmcnt(0)
	buffer_wbinvl1_vol
	s_barrier
.LBB6_391:                              ;   in Loop: Header=BB6_273 Depth=3
	s_or_b64 exec, exec, s[88:89]
	s_or_b64 exec, exec, s[78:79]
                                        ; implicit-def: $vgpr0
	s_and_saveexec_b64 s[78:79], s[24:25]
	s_xor_b64 s[78:79], exec, s[78:79]
	s_cbranch_execnz .LBB6_349
.LBB6_392:                              ;   in Loop: Header=BB6_273 Depth=3
	s_andn2_saveexec_b64 s[28:29], s[78:79]
	s_cbranch_execz .LBB6_411
.LBB6_393:                              ;   in Loop: Header=BB6_273 Depth=3
	s_and_saveexec_b64 s[78:79], s[56:57]
	s_xor_b64 s[78:79], exec, s[78:79]
	s_cbranch_execz .LBB6_408
; %bb.394:                              ;   in Loop: Header=BB6_273 Depth=3
	s_and_saveexec_b64 s[88:89], s[16:17]
	s_cbranch_execz .LBB6_407
; %bb.395:                              ;   in Loop: Header=BB6_273 Depth=3
	s_mov_b64 s[92:93], exec
	v_mbcnt_lo_u32_b32 v0, s92, 0
	v_mbcnt_hi_u32_b32 v0, s93, v0
	v_cmp_eq_u32_e32 vcc, 0, v0
	;;#ASMSTART
	s_waitcnt lgkmcnt(0) vmcnt(0)
	;;#ASMEND
	s_and_saveexec_b64 s[90:91], vcc
	s_cbranch_execz .LBB6_397
; %bb.396:                              ;   in Loop: Header=BB6_273 Depth=3
	s_bcnt1_i32_b64 s92, s[92:93]
	v_mov_b32_e32 v3, s92
	v_mov_b32_e32 v4, v23
	s_waitcnt lgkmcnt(0)
	ds_add_u64 v0, v[3:4]
	s_trap 2
.LBB6_397:                              ;   in Loop: Header=BB6_273 Depth=3
	s_or_b64 exec, exec, s[90:91]
	s_trap 2
	ds_read_b64 v[3:4], v0
	s_waitcnt vmcnt(0) lgkmcnt(0)
	v_add_co_u32_e32 v12, vcc, v12, v49
	v_addc_co_u32_e32 v13, vcc, 0, v13, vcc
	v_cmp_lt_u64_e32 vcc, v[3:4], v[12:13]
	s_and_saveexec_b64 s[90:91], vcc
	s_cbranch_execz .LBB6_406
; %bb.398:                              ;   in Loop: Header=BB6_273 Depth=3
	s_mov_b32 s38, 0
	s_mov_b64 s[92:93], 0
                                        ; implicit-def: $sgpr94_sgpr95
                                        ; implicit-def: $sgpr30_sgpr31
	s_branch .LBB6_400
.LBB6_399:                              ;   in Loop: Header=BB6_400 Depth=4
	s_or_b64 exec, exec, s[36:37]
	s_and_b64 vcc, exec, vcc
	s_or_b64 s[92:93], vcc, s[92:93]
	s_andn2_b64 s[94:95], s[94:95], exec
	s_and_b64 vcc, s[30:31], exec
	s_or_b64 s[94:95], s[94:95], vcc
	s_andn2_b64 exec, exec, s[92:93]
	s_cbranch_execz .LBB6_404
.LBB6_400:                              ;   Parent Loop BB6_47 Depth=1
                                        ;     Parent Loop BB6_270 Depth=2
                                        ;       Parent Loop BB6_273 Depth=3
                                        ; =>      This Inner Loop Header: Depth=4
	s_add_i32 s38, s38, 1
	s_cmpk_lg_i32 s38, 0x2710
	s_cselect_b64 s[34:35], -1, 0
	s_and_b64 vcc, exec, s[34:35]
	s_cbranch_vccz .LBB6_402
; %bb.401:                              ;   in Loop: Header=BB6_400 Depth=4
	s_mov_b64 vcc, -1
	s_or_b64 s[30:31], s[30:31], exec
	s_and_saveexec_b64 s[36:37], s[34:35]
	s_cbranch_execz .LBB6_399
	s_branch .LBB6_403
.LBB6_402:                              ;   in Loop: Header=BB6_400 Depth=4
	s_trap 2
	ds_read_b64 v[3:4], v0
	s_andn2_b64 s[34:35], s[34:35], exec
	s_mov_b32 s38, 0
	s_waitcnt lgkmcnt(0)
	flat_load_dword v0, v[3:4] glc
	s_waitcnt vmcnt(0) lgkmcnt(0)
	buffer_wbinvl1_vol
	v_cmp_eq_u32_e32 vcc, 0, v0
	s_and_b64 vcc, vcc, exec
	s_or_b64 s[34:35], s[34:35], vcc
	s_mov_b64 vcc, -1
	s_or_b64 s[30:31], s[30:31], exec
	s_and_saveexec_b64 s[36:37], s[34:35]
	s_cbranch_execz .LBB6_399
.LBB6_403:                              ;   in Loop: Header=BB6_400 Depth=4
	s_sleep 1
	s_trap 2
	ds_read_b64 v[3:4], v0
	s_waitcnt lgkmcnt(0)
	s_andn2_b64 s[30:31], s[30:31], exec
	v_cmp_ge_u64_e32 vcc, v[3:4], v[12:13]
	s_orn2_b64 vcc, vcc, exec
	s_branch .LBB6_399
.LBB6_404:                              ;   in Loop: Header=BB6_273 Depth=3
	s_or_b64 exec, exec, s[92:93]
	s_and_saveexec_b64 s[92:93], s[94:95]
	s_xor_b64 s[92:93], exec, s[92:93]
	s_cbranch_execz .LBB6_406
; %bb.405:                              ;   in Loop: Header=BB6_273 Depth=3
	ds_write_b32 v0, v47
	s_trap 2
.LBB6_406:                              ;   in Loop: Header=BB6_273 Depth=3
	s_or_b64 exec, exec, s[90:91]
	;;#ASMSTART
	s_wakeup
	;;#ASMEND
.LBB6_407:                              ;   in Loop: Header=BB6_273 Depth=3
	s_or_b64 exec, exec, s[88:89]
.LBB6_408:                              ;   in Loop: Header=BB6_273 Depth=3
	s_andn2_saveexec_b64 s[78:79], s[78:79]
	s_cbranch_execz .LBB6_410
; %bb.409:                              ;   in Loop: Header=BB6_273 Depth=3
	;;#ASMSTART
	s_waitcnt lgkmcnt(0) vmcnt(0)
	;;#ASMEND
	s_waitcnt vmcnt(0) lgkmcnt(0)
	s_barrier
.LBB6_410:                              ;   in Loop: Header=BB6_273 Depth=3
	s_or_b64 exec, exec, s[78:79]
	v_and_b32_e32 v0, 16, v62
.LBB6_411:                              ;   in Loop: Header=BB6_273 Depth=3
	s_or_b64 exec, exec, s[28:29]
	v_cmp_ne_u32_e32 vcc, 0, v0
	s_xor_b64 s[28:29], s[12:13], -1
	s_and_b64 s[78:79], vcc, s[28:29]
	s_and_saveexec_b64 s[28:29], s[78:79]
	s_cbranch_execz .LBB6_413
; %bb.412:                              ;   in Loop: Header=BB6_273 Depth=3
	s_waitcnt vmcnt(0)
	flat_store_dword v[30:31], v47
.LBB6_413:                              ;   in Loop: Header=BB6_273 Depth=3
	s_or_b64 exec, exec, s[28:29]
	v_and_b32_e32 v0, 48, v62
	v_cmp_ne_u32_e32 vcc, 0, v0
	s_and_saveexec_b64 s[28:29], vcc
	s_cbranch_execz .LBB6_272
; %bb.414:                              ;   in Loop: Header=BB6_273 Depth=3
	v_add_co_u32_e32 v50, vcc, 2, v50
	v_addc_co_u32_e32 v51, vcc, 0, v51, vcc
	flat_store_dwordx2 v[60:61], v[50:51]
	s_branch .LBB6_272
.LBB6_415:                              ;   in Loop: Header=BB6_270 Depth=2
	s_or_b64 exec, exec, s[42:43]
	v_mov_b32_e32 v4, v50
	v_mov_b32_e32 v5, v51
.LBB6_416:                              ;   in Loop: Header=BB6_270 Depth=2
	s_or_b64 exec, exec, s[40:41]
	v_cmp_gt_i32_e32 vcc, 2, v0
	s_mov_b64 s[40:41], exec
	v_mov_b32_e32 v51, v5
	s_and_b64 s[28:29], s[40:41], vcc
	v_mov_b32_e32 v50, v4
	s_mov_b64 exec, s[28:29]
	s_cbranch_execz .LBB6_492
; %bb.417:                              ;   in Loop: Header=BB6_270 Depth=2
	v_cmp_eq_u32_e64 s[76:77], 0, v0
	s_mov_b64 s[42:43], 0
	s_branch .LBB6_419
.LBB6_418:                              ;   in Loop: Header=BB6_419 Depth=3
	s_or_b64 exec, exec, s[28:29]
	v_add_u32_e32 v10, v8, v10
	s_mov_b64 s[76:77], 0
	s_andn2_b64 exec, exec, s[42:43]
	s_cbranch_execz .LBB6_491
.LBB6_419:                              ;   Parent Loop BB6_47 Depth=1
                                        ;     Parent Loop BB6_270 Depth=2
                                        ; =>    This Loop Header: Depth=3
                                        ;         Child Loop BB6_425 Depth 4
                                        ;         Child Loop BB6_453 Depth 4
	;; [unrolled: 1-line block ×3, first 2 shown]
	v_sub_u32_e32 v0, v46, v10
	v_min_i32_e32 v8, v8, v0
	v_and_b32_e32 v0, 12, v62
	v_cmp_ne_u32_e32 vcc, 0, v0
	s_and_saveexec_b64 s[78:79], vcc
	s_cbranch_execz .LBB6_445
; %bb.420:                              ;   in Loop: Header=BB6_419 Depth=3
	v_and_b32_e32 v0, 8, v62
	s_waitcnt vmcnt(0) lgkmcnt(0)
	v_add_co_u32_e32 v1, vcc, v26, v0
	v_addc_co_u32_e32 v2, vcc, 0, v27, vcc
	v_mov_b32_e32 v4, v50
	v_mov_b32_e32 v5, v51
	v_add_co_u32_e32 v50, vcc, 2, v4
	v_addc_co_u32_e32 v51, vcc, 0, v5, vcc
	v_cmp_lt_u64_e32 vcc, v[1:2], v[50:51]
	s_and_saveexec_b64 s[88:89], vcc
	s_cbranch_execz .LBB6_432
; %bb.421:                              ;   in Loop: Header=BB6_419 Depth=3
	v_and_b32_e32 v1, 64, v62
	s_mov_b32 s96, 0
	v_cmp_eq_u32_e32 vcc, 0, v1
	s_mov_b64 s[90:91], 0
                                        ; implicit-def: $sgpr92_sgpr93
                                        ; implicit-def: $sgpr94_sgpr95
                                        ; implicit-def: $sgpr30_sgpr31
	s_branch .LBB6_425
.LBB6_422:                              ;   in Loop: Header=BB6_425 Depth=4
	s_waitcnt vmcnt(0) lgkmcnt(0)
	v_add_co_u32_e64 v1, s[28:29], v26, v0
	v_addc_co_u32_e64 v2, s[28:29], 0, v27, s[28:29]
	v_cmp_ge_u64_e64 s[28:29], v[1:2], v[50:51]
	s_or_b64 s[38:39], s[38:39], exec
	s_orn2_b64 s[36:37], s[28:29], exec
.LBB6_423:                              ;   in Loop: Header=BB6_425 Depth=4
	s_or_b64 exec, exec, s[50:51]
	s_andn2_b64 s[28:29], s[30:31], exec
	s_and_b64 s[30:31], s[38:39], exec
	s_or_b64 s[30:31], s[28:29], s[30:31]
	s_andn2_b64 s[28:29], s[94:95], exec
	s_and_b64 s[94:95], s[36:37], exec
	s_or_b64 s[94:95], s[28:29], s[94:95]
.LBB6_424:                              ;   in Loop: Header=BB6_425 Depth=4
	s_or_b64 exec, exec, s[34:35]
	s_and_b64 s[28:29], exec, s[94:95]
	s_or_b64 s[90:91], s[28:29], s[90:91]
	s_andn2_b64 s[28:29], s[92:93], exec
	s_and_b64 s[92:93], s[30:31], exec
	s_or_b64 s[92:93], s[28:29], s[92:93]
	s_andn2_b64 exec, exec, s[90:91]
	s_cbranch_execz .LBB6_429
.LBB6_425:                              ;   Parent Loop BB6_47 Depth=1
                                        ;     Parent Loop BB6_270 Depth=2
                                        ;       Parent Loop BB6_419 Depth=3
                                        ; =>      This Inner Loop Header: Depth=4
	s_sleep 1
	s_waitcnt vmcnt(0) lgkmcnt(0)
	flat_load_dwordx2 v[26:27], v[60:61] glc
	s_or_b64 s[30:31], s[30:31], exec
	s_or_b64 s[94:95], s[94:95], exec
                                        ; implicit-def: $vgpr3
	s_and_saveexec_b64 s[34:35], vcc
	s_cbranch_execz .LBB6_424
; %bb.426:                              ;   in Loop: Header=BB6_425 Depth=4
	s_cmpk_lt_i32 s96, 0x270f
	s_cselect_b64 s[48:49], -1, 0
	s_cmpk_gt_i32 s96, 0x270e
	s_mov_b64 s[36:37], -1
	s_cbranch_scc0 .LBB6_428
; %bb.427:                              ;   in Loop: Header=BB6_425 Depth=4
	s_trap 2
	ds_read_b64 v[1:2], v0
	s_andn2_b64 s[48:49], s[48:49], exec
	s_mov_b32 s96, 0
	s_mov_b64 s[38:39], 0
	s_waitcnt vmcnt(0) lgkmcnt(0)
	flat_load_dword v3, v[1:2] glc
	s_waitcnt vmcnt(0) lgkmcnt(0)
	buffer_wbinvl1_vol
	v_cmp_eq_u32_e64 s[28:29], 0, v3
	s_and_b64 s[28:29], s[28:29], exec
	s_or_b64 s[48:49], s[48:49], s[28:29]
	s_and_saveexec_b64 s[50:51], s[48:49]
	s_cbranch_execz .LBB6_423
	s_branch .LBB6_422
.LBB6_428:                              ;   in Loop: Header=BB6_425 Depth=4
	s_add_i32 s96, s96, 1
	s_mov_b64 s[38:39], -1
                                        ; implicit-def: $vgpr3
	s_and_saveexec_b64 s[50:51], s[48:49]
	s_cbranch_execz .LBB6_423
	s_branch .LBB6_422
.LBB6_429:                              ;   in Loop: Header=BB6_419 Depth=3
	s_or_b64 exec, exec, s[90:91]
	s_xor_b64 s[28:29], s[92:93], -1
	s_and_saveexec_b64 s[90:91], s[28:29]
	s_xor_b64 s[28:29], exec, s[90:91]
	s_cbranch_execz .LBB6_431
; %bb.430:                              ;   in Loop: Header=BB6_419 Depth=3
	v_or_b32_e32 v62, 64, v62
	s_waitcnt lgkmcnt(0)
	ds_write_b32 v0, v3
	s_trap 2
.LBB6_431:                              ;   in Loop: Header=BB6_419 Depth=3
	s_or_b64 exec, exec, s[28:29]
.LBB6_432:                              ;   in Loop: Header=BB6_419 Depth=3
	s_or_b64 exec, exec, s[88:89]
	v_and_b32_e32 v1, 0x108, v62
	v_cmp_ne_u32_e32 vcc, s65, v1
	;;#ASMSTART
	s_wakeup
	;;#ASMEND
                                        ; implicit-def: $vgpr52_vgpr53
	s_and_saveexec_b64 s[28:29], vcc
	s_xor_b64 s[28:29], exec, s[28:29]
; %bb.433:                              ;   in Loop: Header=BB6_419 Depth=3
	v_and_b32_e32 v52, 7, v4
	v_mov_b32_e32 v53, v23
                                        ; implicit-def: $vgpr4_vgpr5
; %bb.434:                              ;   in Loop: Header=BB6_419 Depth=3
	s_andn2_saveexec_b64 s[28:29], s[28:29]
	s_cbranch_execz .LBB6_436
; %bb.435:                              ;   in Loop: Header=BB6_419 Depth=3
	v_and_b32_e32 v52, 7, v4
	v_mad_u64_u32 v[1:2], s[88:89], v52, 24, v[19:20]
	v_ashrrev_i32_e32 v9, 31, v8
	v_lshlrev_b64 v[3:4], 2, v[8:9]
	v_mov_b32_e32 v53, v23
	flat_store_dwordx2 v[1:2], v[3:4] offset:8
.LBB6_436:                              ;   in Loop: Header=BB6_419 Depth=3
	s_or_b64 exec, exec, s[28:29]
	v_and_b32_e32 v1, 0x100, v62
	v_cmp_ne_u32_e32 vcc, 0, v1
	s_mov_b64 s[28:29], -1
                                        ; implicit-def: $vgpr36_vgpr37
	s_and_saveexec_b64 s[88:89], vcc
	s_cbranch_execz .LBB6_440
; %bb.437:                              ;   in Loop: Header=BB6_419 Depth=3
	v_mad_u64_u32 v[54:55], s[28:29], v52, 24, v[19:20]
                                        ; implicit-def: $vgpr36_vgpr37
	v_mov_b32_e32 v1, v55
	v_mad_u64_u32 v[1:2], s[28:29], v53, 24, v[1:2]
	v_mov_b32_e32 v55, v1
	flat_load_dword v1, v[54:55]
	s_waitcnt vmcnt(0) lgkmcnt(0)
	v_cmp_ne_u32_e32 vcc, 1, v1
	v_cmp_eq_u32_e64 s[28:29], 1, v1
	s_and_saveexec_b64 s[90:91], s[28:29]
	s_cbranch_execz .LBB6_439
; %bb.438:                              ;   in Loop: Header=BB6_419 Depth=3
	flat_load_dword v1, v[54:55] offset:4 glc
	s_waitcnt vmcnt(0) lgkmcnt(0)
	v_ashrrev_i32_e32 v2, 31, v1
	v_lshrrev_b64 v[36:37], 2, v[1:2]
.LBB6_439:                              ;   in Loop: Header=BB6_419 Depth=3
	s_or_b64 exec, exec, s[90:91]
	s_orn2_b64 s[28:29], vcc, exec
.LBB6_440:                              ;   in Loop: Header=BB6_419 Depth=3
	s_or_b64 exec, exec, s[88:89]
	s_and_saveexec_b64 s[88:89], s[28:29]
	s_cbranch_execz .LBB6_442
; %bb.441:                              ;   in Loop: Header=BB6_419 Depth=3
	v_mul_lo_u32 v1, v53, v58
	v_mul_lo_u32 v2, v52, v59
	v_mad_u64_u32 v[36:37], s[28:29], v52, v58, 0
	v_add3_u32 v37, v37, v2, v1
.LBB6_442:                              ;   in Loop: Header=BB6_419 Depth=3
	s_or_b64 exec, exec, s[88:89]
	v_cmp_eq_u32_e32 vcc, 0, v0
	v_mov_b32_e32 v0, 0xc8
	v_mov_b32_e32 v1, 0x90
	v_cndmask_b32_e32 v2, v0, v1, vcc
	v_lshlrev_b64 v[0:1], 2, v[36:37]
	v_add_co_u32_e32 v0, vcc, v28, v0
	v_addc_co_u32_e32 v1, vcc, v29, v1, vcc
	v_add_u32_e32 v2, v0, v2
	ds_write_b64 v2, v[0:1] offset:584
	v_and_b32_e32 v0, 0x2000, v62
	v_cmp_ne_u32_e32 vcc, 0, v0
	s_and_saveexec_b64 s[28:29], vcc
	s_cbranch_execz .LBB6_444
; %bb.443:                              ;   in Loop: Header=BB6_419 Depth=3
	ds_read_b64 v[0:1], v0 offset:872
	s_waitcnt lgkmcnt(0)
	v_add_co_u32_e32 v0, vcc, 1, v0
	v_addc_co_u32_e32 v1, vcc, 0, v1, vcc
	ds_write_b64 v0, v[0:1] offset:872
.LBB6_444:                              ;   in Loop: Header=BB6_419 Depth=3
	s_or_b64 exec, exec, s[28:29]
.LBB6_445:                              ;   in Loop: Header=BB6_419 Depth=3
	s_or_b64 exec, exec, s[78:79]
	s_xor_b64 s[28:29], s[76:77], -1
	s_and_b64 s[28:29], exec, s[28:29]
	s_or_b64 s[42:43], s[28:29], s[42:43]
	s_and_saveexec_b64 s[28:29], s[10:11]
	s_cbranch_execz .LBB6_464
; %bb.446:                              ;   in Loop: Header=BB6_419 Depth=3
	s_and_saveexec_b64 s[76:77], s[56:57]
	s_xor_b64 s[76:77], exec, s[76:77]
	s_cbranch_execz .LBB6_461
; %bb.447:                              ;   in Loop: Header=BB6_419 Depth=3
	s_and_saveexec_b64 s[78:79], s[16:17]
	s_cbranch_execz .LBB6_460
; %bb.448:                              ;   in Loop: Header=BB6_419 Depth=3
	s_mov_b64 s[90:91], exec
	v_mbcnt_lo_u32_b32 v0, s90, 0
	v_mbcnt_hi_u32_b32 v0, s91, v0
	v_cmp_eq_u32_e32 vcc, 0, v0
	s_waitcnt vmcnt(0) lgkmcnt(0)
	buffer_wbinvl1_vol
	s_and_saveexec_b64 s[88:89], vcc
	s_cbranch_execz .LBB6_450
; %bb.449:                              ;   in Loop: Header=BB6_419 Depth=3
	s_bcnt1_i32_b64 s90, s[90:91]
	v_mov_b32_e32 v0, s90
	v_mov_b32_e32 v1, v23
	ds_add_u64 v0, v[0:1]
	s_trap 2
.LBB6_450:                              ;   in Loop: Header=BB6_419 Depth=3
	s_or_b64 exec, exec, s[88:89]
	s_trap 2
	ds_read_b64 v[0:1], v0
	s_waitcnt lgkmcnt(0)
	v_add_co_u32_e32 v12, vcc, v12, v49
	v_addc_co_u32_e32 v13, vcc, 0, v13, vcc
	v_cmp_lt_u64_e32 vcc, v[0:1], v[12:13]
	s_and_saveexec_b64 s[88:89], vcc
	s_cbranch_execz .LBB6_459
; %bb.451:                              ;   in Loop: Header=BB6_419 Depth=3
	s_mov_b32 s36, 0
	s_mov_b64 s[90:91], 0
                                        ; implicit-def: $sgpr92_sgpr93
                                        ; implicit-def: $sgpr94_sgpr95
	s_branch .LBB6_453
.LBB6_452:                              ;   in Loop: Header=BB6_453 Depth=4
	s_or_b64 exec, exec, s[34:35]
	s_and_b64 vcc, exec, vcc
	s_or_b64 s[90:91], vcc, s[90:91]
	s_andn2_b64 s[92:93], s[92:93], exec
	s_and_b64 vcc, s[94:95], exec
	s_or_b64 s[92:93], s[92:93], vcc
	s_andn2_b64 exec, exec, s[90:91]
	s_cbranch_execz .LBB6_457
.LBB6_453:                              ;   Parent Loop BB6_47 Depth=1
                                        ;     Parent Loop BB6_270 Depth=2
                                        ;       Parent Loop BB6_419 Depth=3
                                        ; =>      This Inner Loop Header: Depth=4
	s_add_i32 s36, s36, 1
	s_cmpk_lg_i32 s36, 0x2710
	s_cselect_b64 s[30:31], -1, 0
	s_and_b64 vcc, exec, s[30:31]
	s_cbranch_vccz .LBB6_455
; %bb.454:                              ;   in Loop: Header=BB6_453 Depth=4
	s_mov_b64 vcc, -1
	s_or_b64 s[94:95], s[94:95], exec
	s_and_saveexec_b64 s[34:35], s[30:31]
	s_cbranch_execz .LBB6_452
	s_branch .LBB6_456
.LBB6_455:                              ;   in Loop: Header=BB6_453 Depth=4
	s_trap 2
	ds_read_b64 v[0:1], v0
	s_andn2_b64 s[30:31], s[30:31], exec
	s_mov_b32 s36, 0
	s_waitcnt lgkmcnt(0)
	flat_load_dword v0, v[0:1] glc
	s_waitcnt vmcnt(0) lgkmcnt(0)
	buffer_wbinvl1_vol
	v_cmp_eq_u32_e32 vcc, 0, v0
	s_and_b64 vcc, vcc, exec
	s_or_b64 s[30:31], s[30:31], vcc
	s_mov_b64 vcc, -1
	s_or_b64 s[94:95], s[94:95], exec
	s_and_saveexec_b64 s[34:35], s[30:31]
	s_cbranch_execz .LBB6_452
.LBB6_456:                              ;   in Loop: Header=BB6_453 Depth=4
	s_sleep 1
	s_trap 2
	ds_read_b64 v[0:1], v0
	s_waitcnt lgkmcnt(0)
	s_andn2_b64 s[94:95], s[94:95], exec
	v_cmp_ge_u64_e32 vcc, v[0:1], v[12:13]
	s_orn2_b64 vcc, vcc, exec
	s_branch .LBB6_452
.LBB6_457:                              ;   in Loop: Header=BB6_419 Depth=3
	s_or_b64 exec, exec, s[90:91]
	s_and_saveexec_b64 s[90:91], s[92:93]
	s_xor_b64 s[90:91], exec, s[90:91]
	s_cbranch_execz .LBB6_459
; %bb.458:                              ;   in Loop: Header=BB6_419 Depth=3
	ds_write_b32 v0, v47
	s_trap 2
.LBB6_459:                              ;   in Loop: Header=BB6_419 Depth=3
	s_or_b64 exec, exec, s[88:89]
	;;#ASMSTART
	s_wakeup
	;;#ASMEND
.LBB6_460:                              ;   in Loop: Header=BB6_419 Depth=3
	s_or_b64 exec, exec, s[78:79]
.LBB6_461:                              ;   in Loop: Header=BB6_419 Depth=3
	s_andn2_saveexec_b64 s[76:77], s[76:77]
	s_cbranch_execz .LBB6_463
; %bb.462:                              ;   in Loop: Header=BB6_419 Depth=3
	s_waitcnt vmcnt(0) lgkmcnt(0)
	buffer_wbinvl1_vol
	s_barrier
.LBB6_463:                              ;   in Loop: Header=BB6_419 Depth=3
	s_or_b64 exec, exec, s[76:77]
.LBB6_464:                              ;   in Loop: Header=BB6_419 Depth=3
	s_or_b64 exec, exec, s[28:29]
                                        ; implicit-def: $vgpr0
	s_and_saveexec_b64 s[28:29], s[62:63]
	s_xor_b64 s[28:29], exec, s[28:29]
	s_cbranch_execz .LBB6_476
; %bb.465:                              ;   in Loop: Header=BB6_419 Depth=3
	s_and_saveexec_b64 s[76:77], s[56:57]
	s_xor_b64 s[76:77], exec, s[76:77]
	s_cbranch_execz .LBB6_481
; %bb.466:                              ;   in Loop: Header=BB6_419 Depth=3
	s_and_saveexec_b64 s[78:79], s[16:17]
	s_cbranch_execz .LBB6_480
; %bb.467:                              ;   in Loop: Header=BB6_419 Depth=3
	s_mov_b64 s[90:91], exec
	v_mbcnt_lo_u32_b32 v0, s90, 0
	v_mbcnt_hi_u32_b32 v0, s91, v0
	v_cmp_eq_u32_e32 vcc, 0, v0
	;;#ASMSTART
	s_waitcnt lgkmcnt(0) vmcnt(0)
	;;#ASMEND
	s_and_saveexec_b64 s[88:89], vcc
	s_cbranch_execz .LBB6_469
; %bb.468:                              ;   in Loop: Header=BB6_419 Depth=3
	s_bcnt1_i32_b64 s90, s[90:91]
	v_mov_b32_e32 v0, s90
	v_mov_b32_e32 v1, v23
	s_waitcnt lgkmcnt(0)
	ds_add_u64 v0, v[0:1]
	s_trap 2
.LBB6_469:                              ;   in Loop: Header=BB6_419 Depth=3
	s_or_b64 exec, exec, s[88:89]
	s_trap 2
	ds_read_b64 v[0:1], v0
	s_waitcnt vmcnt(0) lgkmcnt(0)
	v_add_co_u32_e32 v12, vcc, v12, v49
	v_addc_co_u32_e32 v13, vcc, 0, v13, vcc
	v_cmp_lt_u64_e32 vcc, v[0:1], v[12:13]
	s_and_saveexec_b64 s[88:89], vcc
	s_cbranch_execz .LBB6_479
; %bb.470:                              ;   in Loop: Header=BB6_419 Depth=3
	s_mov_b32 s36, 0
	s_mov_b64 s[90:91], 0
                                        ; implicit-def: $sgpr92_sgpr93
                                        ; implicit-def: $sgpr94_sgpr95
	s_branch .LBB6_472
.LBB6_471:                              ;   in Loop: Header=BB6_472 Depth=4
	s_or_b64 exec, exec, s[34:35]
	s_and_b64 vcc, exec, vcc
	s_or_b64 s[90:91], vcc, s[90:91]
	s_andn2_b64 s[92:93], s[92:93], exec
	s_and_b64 vcc, s[94:95], exec
	s_or_b64 s[92:93], s[92:93], vcc
	s_andn2_b64 exec, exec, s[90:91]
	s_cbranch_execz .LBB6_477
.LBB6_472:                              ;   Parent Loop BB6_47 Depth=1
                                        ;     Parent Loop BB6_270 Depth=2
                                        ;       Parent Loop BB6_419 Depth=3
                                        ; =>      This Inner Loop Header: Depth=4
	s_add_i32 s36, s36, 1
	s_cmpk_lg_i32 s36, 0x2710
	s_cselect_b64 s[30:31], -1, 0
	s_and_b64 vcc, exec, s[30:31]
	s_cbranch_vccz .LBB6_474
; %bb.473:                              ;   in Loop: Header=BB6_472 Depth=4
	s_mov_b64 vcc, -1
	s_or_b64 s[94:95], s[94:95], exec
	s_and_saveexec_b64 s[34:35], s[30:31]
	s_cbranch_execz .LBB6_471
	s_branch .LBB6_475
.LBB6_474:                              ;   in Loop: Header=BB6_472 Depth=4
	s_trap 2
	ds_read_b64 v[0:1], v0
	s_andn2_b64 s[30:31], s[30:31], exec
	s_mov_b32 s36, 0
	s_waitcnt lgkmcnt(0)
	flat_load_dword v0, v[0:1] glc
	s_waitcnt vmcnt(0) lgkmcnt(0)
	buffer_wbinvl1_vol
	v_cmp_eq_u32_e32 vcc, 0, v0
	s_and_b64 vcc, vcc, exec
	s_or_b64 s[30:31], s[30:31], vcc
	s_mov_b64 vcc, -1
	s_or_b64 s[94:95], s[94:95], exec
	s_and_saveexec_b64 s[34:35], s[30:31]
	s_cbranch_execz .LBB6_471
.LBB6_475:                              ;   in Loop: Header=BB6_472 Depth=4
	s_sleep 1
	s_trap 2
	ds_read_b64 v[0:1], v0
	s_waitcnt lgkmcnt(0)
	s_andn2_b64 s[94:95], s[94:95], exec
	v_cmp_ge_u64_e32 vcc, v[0:1], v[12:13]
	s_orn2_b64 vcc, vcc, exec
	s_branch .LBB6_471
.LBB6_476:                              ;   in Loop: Header=BB6_419 Depth=3
	s_andn2_saveexec_b64 s[28:29], s[28:29]
	s_cbranch_execnz .LBB6_484
	s_branch .LBB6_487
.LBB6_477:                              ;   in Loop: Header=BB6_419 Depth=3
	s_or_b64 exec, exec, s[90:91]
	s_and_saveexec_b64 s[90:91], s[92:93]
	s_xor_b64 s[90:91], exec, s[90:91]
	s_cbranch_execz .LBB6_479
; %bb.478:                              ;   in Loop: Header=BB6_419 Depth=3
	ds_write_b32 v0, v47
	s_trap 2
.LBB6_479:                              ;   in Loop: Header=BB6_419 Depth=3
	s_or_b64 exec, exec, s[88:89]
	;;#ASMSTART
	s_wakeup
	;;#ASMEND
.LBB6_480:                              ;   in Loop: Header=BB6_419 Depth=3
	s_or_b64 exec, exec, s[78:79]
.LBB6_481:                              ;   in Loop: Header=BB6_419 Depth=3
	s_andn2_saveexec_b64 s[76:77], s[76:77]
	s_cbranch_execz .LBB6_483
; %bb.482:                              ;   in Loop: Header=BB6_419 Depth=3
	;;#ASMSTART
	s_waitcnt lgkmcnt(0) vmcnt(0)
	;;#ASMEND
	s_waitcnt vmcnt(0) lgkmcnt(0)
	s_barrier
.LBB6_483:                              ;   in Loop: Header=BB6_419 Depth=3
	s_or_b64 exec, exec, s[76:77]
	v_and_b32_e32 v0, 16, v62
	s_andn2_saveexec_b64 s[28:29], s[28:29]
	s_cbranch_execz .LBB6_487
.LBB6_484:                              ;   in Loop: Header=BB6_419 Depth=3
	s_trap 2
	ds_read_b32 v0, v0
	v_cmp_lt_i32_e32 vcc, 0, v8
	v_and_b32_e32 v1, 16, v62
	s_waitcnt lgkmcnt(0)
	v_readfirstlane_b32 s76, v0
	s_cmp_eq_u32 s76, 0
	s_cselect_b64 s[76:77], -1, 0
	s_and_b64 s[76:77], vcc, s[76:77]
	v_cmp_ne_u32_e32 vcc, 0, v1
	v_and_b32_e32 v0, 16, v62
	s_and_b64 s[78:79], vcc, s[76:77]
	s_and_saveexec_b64 s[76:77], s[78:79]
	s_cbranch_execz .LBB6_486
; %bb.485:                              ;   in Loop: Header=BB6_419 Depth=3
	v_mov_b32_e32 v0, 1
	s_waitcnt vmcnt(0)
	buffer_wbinvl1_vol
.LBB6_486:                              ;   in Loop: Header=BB6_419 Depth=3
	s_or_b64 exec, exec, s[76:77]
.LBB6_487:                              ;   in Loop: Header=BB6_419 Depth=3
	s_or_b64 exec, exec, s[28:29]
	v_cmp_ne_u32_e32 vcc, 0, v0
	s_xor_b64 s[28:29], s[12:13], -1
	s_and_b64 s[76:77], vcc, s[28:29]
	s_and_saveexec_b64 s[28:29], s[76:77]
	s_cbranch_execz .LBB6_489
; %bb.488:                              ;   in Loop: Header=BB6_419 Depth=3
	s_waitcnt vmcnt(0)
	flat_store_dword v[30:31], v47
.LBB6_489:                              ;   in Loop: Header=BB6_419 Depth=3
	s_or_b64 exec, exec, s[28:29]
	v_and_b32_e32 v0, 48, v62
	v_cmp_ne_u32_e32 vcc, 0, v0
	s_and_saveexec_b64 s[28:29], vcc
	s_cbranch_execz .LBB6_418
; %bb.490:                              ;   in Loop: Header=BB6_419 Depth=3
	v_add_co_u32_e32 v50, vcc, 2, v50
	v_addc_co_u32_e32 v51, vcc, 0, v51, vcc
	flat_store_dwordx2 v[60:61], v[50:51]
	s_branch .LBB6_418
.LBB6_491:                              ;   in Loop: Header=BB6_270 Depth=2
	s_or_b64 exec, exec, s[42:43]
.LBB6_492:                              ;   in Loop: Header=BB6_270 Depth=2
	s_or_b64 exec, exec, s[40:41]
	s_add_i32 s75, s75, 1
	s_cmp_eq_u32 s75, s52
	s_cbranch_scc1 .LBB6_494
; %bb.493:                              ;   in Loop: Header=BB6_270 Depth=2
	v_mov_b32_e32 v4, v50
	v_mov_b32_e32 v5, v51
	s_branch .LBB6_270
.LBB6_494:                              ;   in Loop: Header=BB6_47 Depth=1
	buffer_load_dword v46, off, s[0:3], s33 offset:132 ; 4-byte Folded Reload
.LBB6_495:                              ;   in Loop: Header=BB6_47 Depth=1
	s_nop 0
	buffer_store_dword v23, off, s[0:3], s33 offset:224 ; 4-byte Folded Spill
	s_waitcnt vmcnt(0)
	buffer_store_dword v24, off, s[0:3], s33 offset:228 ; 4-byte Folded Spill
	buffer_load_dword v2, off, s[0:3], s33 offset:192 ; 4-byte Folded Reload
	buffer_load_dword v3, off, s[0:3], s33 offset:196 ; 4-byte Folded Reload
	v_mov_b32_e32 v53, 0
	s_waitcnt vmcnt(0)
	v_mul_lo_u32 v1, v2, s53
	v_mul_lo_u32 v0, v3, s52
	v_mad_u64_u32 v[8:9], s[28:29], v2, s52, 0
	v_add3_u32 v9, v9, v1, v0
	buffer_load_dword v0, off, s[0:3], s33 offset:184 ; 4-byte Folded Reload
	buffer_load_dword v1, off, s[0:3], s33 offset:188 ; 4-byte Folded Reload
	s_waitcnt vmcnt(0)
	v_sub_co_u32_e32 v0, vcc, v0, v8
	v_subb_co_u32_e32 v1, vcc, v1, v9, vcc
	v_cmp_lt_i64_e32 vcc, v[2:3], v[0:1]
	v_cndmask_b32_e32 v1, v0, v2, vcc
	v_max_i32_e32 v52, 0, v1
	v_add_u32_e32 v2, 31, v52
	v_lshrrev_b32_e32 v2, 1, v2
	v_and_b32_e32 v2, 0x3ffffff0, v2
	v_cmp_lt_i32_e32 vcc, 0, v1
	v_mov_b32_e32 v0, 0
	v_max_i32_e32 v55, s81, v2
	s_and_b64 s[28:29], s[72:73], vcc
	s_and_saveexec_b64 s[76:77], s[28:29]
	s_cbranch_execz .LBB6_675
; %bb.496:                              ;   in Loop: Header=BB6_47 Depth=1
	buffer_load_dword v0, off, s[0:3], s33 offset:112 ; 4-byte Folded Reload
	buffer_load_dword v1, off, s[0:3], s33 offset:116 ; 4-byte Folded Reload
	s_mov_b32 s75, 1
	s_mov_b64 s[88:89], -1
	v_mov_b32_e32 v53, 0
	s_mov_b64 s[78:79], 0
	s_waitcnt vmcnt(0)
	v_add_co_u32_e32 v0, vcc, v8, v0
	v_addc_co_u32_e32 v1, vcc, v9, v1, vcc
	v_lshlrev_b64 v[0:1], 2, v[0:1]
	buffer_store_dword v0, off, s[0:3], s33 offset:232 ; 4-byte Folded Spill
	s_nop 0
	buffer_store_dword v1, off, s[0:3], s33 offset:236 ; 4-byte Folded Spill
	s_branch .LBB6_498
.LBB6_497:                              ;   in Loop: Header=BB6_498 Depth=2
	s_or_b64 exec, exec, s[28:29]
	v_add_u32_e32 v53, v55, v53
	v_cmp_ge_i32_e32 vcc, v53, v52
	s_xor_b64 s[28:29], s[88:89], -1
	s_or_b64 s[28:29], s[28:29], vcc
	s_and_b64 s[28:29], exec, s[28:29]
	s_or_b64 s[78:79], s[28:29], s[78:79]
	s_mov_b64 s[88:89], 0
	v_mov_b32_e32 v0, s75
	s_mov_b32 s75, 2
	s_andn2_b64 exec, exec, s[78:79]
	s_cbranch_execz .LBB6_750
.LBB6_498:                              ;   Parent Loop BB6_47 Depth=1
                                        ; =>  This Loop Header: Depth=2
                                        ;       Child Loop BB6_506 Depth 3
                                        ;       Child Loop BB6_534 Depth 3
	;; [unrolled: 1-line block ×9, first 2 shown]
                                        ;         Child Loop BB6_588 Depth 4
                                        ;       Child Loop BB6_597 Depth 3
                                        ;       Child Loop BB6_602 Depth 3
                                        ;         Child Loop BB6_603 Depth 4
                                        ;       Child Loop BB6_641 Depth 3
                                        ;       Child Loop BB6_660 Depth 3
	s_and_saveexec_b64 s[28:29], s[4:5]
	s_cbranch_execz .LBB6_500
; %bb.499:                              ;   in Loop: Header=BB6_498 Depth=2
	s_trap 2
	ds_read2_b64 v[4:7], v0 offset1:1
	buffer_load_dword v8, off, s[0:3], s33 offset:232 ; 4-byte Folded Reload
	buffer_load_dword v9, off, s[0:3], s33 offset:236 ; 4-byte Folded Reload
	v_ashrrev_i32_e32 v54, 31, v53
	v_lshlrev_b64 v[0:1], 2, v[53:54]
	s_waitcnt vmcnt(0) lgkmcnt(0)
	v_add_co_u32_e32 v2, vcc, v4, v8
	v_addc_co_u32_e32 v3, vcc, v5, v9, vcc
	v_add_co_u32_e32 v2, vcc, v2, v0
	v_addc_co_u32_e32 v3, vcc, v3, v1, vcc
	ds_write_b64 v0, v[2:3]
	v_add_co_u32_e32 v2, vcc, v6, v8
	v_addc_co_u32_e32 v3, vcc, v7, v9, vcc
	v_add_co_u32_e32 v2, vcc, v2, v0
	v_addc_co_u32_e32 v3, vcc, v3, v1, vcc
	ds_write_b64 v0, v[2:3]
	ds_read_b64 v[2:3], v0
	s_waitcnt lgkmcnt(0)
	v_add_co_u32_e32 v4, vcc, v2, v8
	v_addc_co_u32_e32 v5, vcc, v3, v9, vcc
	v_add_co_u32_e32 v0, vcc, v4, v0
	v_addc_co_u32_e32 v1, vcc, v5, v1, vcc
	v_cmp_ne_u64_e32 vcc, 0, v[2:3]
	v_cndmask_b32_e32 v1, 0, v1, vcc
	v_cndmask_b32_e32 v0, 0, v0, vcc
	ds_write_b64 v0, v[0:1]
.LBB6_500:                              ;   in Loop: Header=BB6_498 Depth=2
	s_or_b64 exec, exec, s[28:29]
	v_sub_u32_e32 v0, v52, v53
	v_min_i32_e32 v55, v55, v0
	v_and_b32_e32 v0, 12, v62
	v_cmp_ne_u32_e32 vcc, 0, v0
	s_and_saveexec_b64 s[40:41], vcc
	s_cbranch_execz .LBB6_526
; %bb.501:                              ;   in Loop: Header=BB6_498 Depth=2
	v_and_b32_e32 v0, 8, v62
	s_waitcnt vmcnt(0) lgkmcnt(0)
	v_add_co_u32_e32 v1, vcc, v26, v0
	v_addc_co_u32_e32 v2, vcc, 0, v27, vcc
	v_add_co_u32_e32 v8, vcc, 2, v50
	v_addc_co_u32_e32 v9, vcc, 0, v51, vcc
	v_cmp_lt_u64_e32 vcc, v[1:2], v[8:9]
	s_and_saveexec_b64 s[42:43], vcc
	s_cbranch_execz .LBB6_513
; %bb.502:                              ;   in Loop: Header=BB6_498 Depth=2
	v_and_b32_e32 v1, 64, v62
	s_mov_b32 s96, 0
	v_cmp_eq_u32_e32 vcc, 0, v1
	s_mov_b64 s[90:91], 0
                                        ; implicit-def: $sgpr92_sgpr93
                                        ; implicit-def: $sgpr94_sgpr95
                                        ; implicit-def: $sgpr30_sgpr31
	s_branch .LBB6_506
.LBB6_503:                              ;   in Loop: Header=BB6_506 Depth=3
	s_waitcnt vmcnt(0) lgkmcnt(0)
	v_add_co_u32_e64 v1, s[28:29], v26, v0
	v_addc_co_u32_e64 v2, s[28:29], 0, v27, s[28:29]
	v_cmp_ge_u64_e64 s[28:29], v[1:2], v[8:9]
	s_or_b64 s[38:39], s[38:39], exec
	s_orn2_b64 s[36:37], s[28:29], exec
.LBB6_504:                              ;   in Loop: Header=BB6_506 Depth=3
	s_or_b64 exec, exec, s[50:51]
	s_andn2_b64 s[28:29], s[30:31], exec
	s_and_b64 s[30:31], s[38:39], exec
	s_or_b64 s[30:31], s[28:29], s[30:31]
	s_andn2_b64 s[28:29], s[94:95], exec
	s_and_b64 s[94:95], s[36:37], exec
	s_or_b64 s[94:95], s[28:29], s[94:95]
.LBB6_505:                              ;   in Loop: Header=BB6_506 Depth=3
	s_or_b64 exec, exec, s[34:35]
	s_and_b64 s[28:29], exec, s[94:95]
	s_or_b64 s[90:91], s[28:29], s[90:91]
	s_andn2_b64 s[28:29], s[92:93], exec
	s_and_b64 s[92:93], s[30:31], exec
	s_or_b64 s[92:93], s[28:29], s[92:93]
	s_andn2_b64 exec, exec, s[90:91]
	s_cbranch_execz .LBB6_510
.LBB6_506:                              ;   Parent Loop BB6_47 Depth=1
                                        ;     Parent Loop BB6_498 Depth=2
                                        ; =>    This Inner Loop Header: Depth=3
	s_sleep 1
	s_waitcnt vmcnt(0) lgkmcnt(0)
	flat_load_dwordx2 v[26:27], v[60:61] glc
	s_or_b64 s[30:31], s[30:31], exec
	s_or_b64 s[94:95], s[94:95], exec
                                        ; implicit-def: $vgpr10
	s_and_saveexec_b64 s[34:35], vcc
	s_cbranch_execz .LBB6_505
; %bb.507:                              ;   in Loop: Header=BB6_506 Depth=3
	s_cmpk_lt_i32 s96, 0x270f
	s_cselect_b64 s[48:49], -1, 0
	s_cmpk_gt_i32 s96, 0x270e
	s_mov_b64 s[36:37], -1
	s_cbranch_scc0 .LBB6_509
; %bb.508:                              ;   in Loop: Header=BB6_506 Depth=3
	s_trap 2
	ds_read_b64 v[1:2], v0
	s_andn2_b64 s[48:49], s[48:49], exec
	s_mov_b32 s96, 0
	s_mov_b64 s[38:39], 0
	s_waitcnt vmcnt(0) lgkmcnt(0)
	flat_load_dword v10, v[1:2] glc
	s_waitcnt vmcnt(0) lgkmcnt(0)
	buffer_wbinvl1_vol
	v_cmp_eq_u32_e64 s[28:29], 0, v10
	s_and_b64 s[28:29], s[28:29], exec
	s_or_b64 s[48:49], s[48:49], s[28:29]
	s_and_saveexec_b64 s[50:51], s[48:49]
	s_cbranch_execz .LBB6_504
	s_branch .LBB6_503
.LBB6_509:                              ;   in Loop: Header=BB6_506 Depth=3
	s_add_i32 s96, s96, 1
	s_mov_b64 s[38:39], -1
                                        ; implicit-def: $vgpr10
	s_and_saveexec_b64 s[50:51], s[48:49]
	s_cbranch_execz .LBB6_504
	s_branch .LBB6_503
.LBB6_510:                              ;   in Loop: Header=BB6_498 Depth=2
	s_or_b64 exec, exec, s[90:91]
	s_xor_b64 s[28:29], s[92:93], -1
	s_and_saveexec_b64 s[90:91], s[28:29]
	s_xor_b64 s[28:29], exec, s[90:91]
	s_cbranch_execz .LBB6_512
; %bb.511:                              ;   in Loop: Header=BB6_498 Depth=2
	v_or_b32_e32 v62, 64, v62
	s_waitcnt lgkmcnt(0)
	ds_write_b32 v0, v10
	s_trap 2
.LBB6_512:                              ;   in Loop: Header=BB6_498 Depth=2
	s_or_b64 exec, exec, s[28:29]
.LBB6_513:                              ;   in Loop: Header=BB6_498 Depth=2
	s_or_b64 exec, exec, s[42:43]
	v_and_b32_e32 v1, 0x108, v62
	v_cmp_ne_u32_e32 vcc, s65, v1
	;;#ASMSTART
	s_wakeup
	;;#ASMEND
                                        ; implicit-def: $vgpr10_vgpr11
	s_and_saveexec_b64 s[28:29], vcc
	s_xor_b64 s[28:29], exec, s[28:29]
; %bb.514:                              ;   in Loop: Header=BB6_498 Depth=2
	v_and_b32_e32 v10, 7, v50
	v_mov_b32_e32 v11, v23
                                        ; implicit-def: $vgpr50_vgpr51
; %bb.515:                              ;   in Loop: Header=BB6_498 Depth=2
	s_andn2_saveexec_b64 s[28:29], s[28:29]
	s_cbranch_execz .LBB6_517
; %bb.516:                              ;   in Loop: Header=BB6_498 Depth=2
	v_and_b32_e32 v10, 7, v50
	v_mad_u64_u32 v[1:2], s[42:43], v10, 24, v[19:20]
	v_ashrrev_i32_e32 v56, 31, v55
	v_lshlrev_b64 v[3:4], 2, v[55:56]
	v_mov_b32_e32 v11, v23
	flat_store_dwordx2 v[1:2], v[3:4] offset:8
.LBB6_517:                              ;   in Loop: Header=BB6_498 Depth=2
	s_or_b64 exec, exec, s[28:29]
	v_and_b32_e32 v1, 0x100, v62
	v_cmp_ne_u32_e32 vcc, 0, v1
	s_mov_b64 s[28:29], -1
                                        ; implicit-def: $vgpr36_vgpr37
	s_and_saveexec_b64 s[42:43], vcc
	s_cbranch_execz .LBB6_521
; %bb.518:                              ;   in Loop: Header=BB6_498 Depth=2
	v_mad_u64_u32 v[40:41], s[28:29], v10, 24, v[19:20]
                                        ; implicit-def: $vgpr36_vgpr37
	v_mov_b32_e32 v1, v41
	v_mad_u64_u32 v[1:2], s[28:29], v11, 24, v[1:2]
	v_mov_b32_e32 v41, v1
	flat_load_dword v1, v[40:41]
	s_waitcnt vmcnt(0) lgkmcnt(0)
	v_cmp_ne_u32_e32 vcc, 1, v1
	v_cmp_eq_u32_e64 s[28:29], 1, v1
	s_and_saveexec_b64 s[90:91], s[28:29]
	s_cbranch_execz .LBB6_520
; %bb.519:                              ;   in Loop: Header=BB6_498 Depth=2
	flat_load_dword v1, v[40:41] offset:4 glc
	s_waitcnt vmcnt(0) lgkmcnt(0)
	v_ashrrev_i32_e32 v2, 31, v1
	v_lshrrev_b64 v[36:37], 2, v[1:2]
.LBB6_520:                              ;   in Loop: Header=BB6_498 Depth=2
	s_or_b64 exec, exec, s[90:91]
	s_orn2_b64 s[28:29], vcc, exec
.LBB6_521:                              ;   in Loop: Header=BB6_498 Depth=2
	s_or_b64 exec, exec, s[42:43]
	s_and_saveexec_b64 s[42:43], s[28:29]
	s_cbranch_execz .LBB6_523
; %bb.522:                              ;   in Loop: Header=BB6_498 Depth=2
	v_mul_lo_u32 v1, v11, v58
	v_mul_lo_u32 v2, v10, v59
	v_mad_u64_u32 v[36:37], s[28:29], v10, v58, 0
	v_add3_u32 v37, v37, v2, v1
.LBB6_523:                              ;   in Loop: Header=BB6_498 Depth=2
	s_or_b64 exec, exec, s[42:43]
	v_cmp_eq_u32_e32 vcc, 0, v0
	v_mov_b32_e32 v0, 0x90
	v_mov_b32_e32 v1, 0xd0
	v_cndmask_b32_e32 v2, v1, v0, vcc
	v_lshlrev_b64 v[0:1], 2, v[36:37]
	v_add_co_u32_e32 v0, vcc, v28, v0
	v_addc_co_u32_e32 v1, vcc, v29, v1, vcc
	v_add_u32_e32 v2, v0, v2
	ds_write_b64 v2, v[0:1] offset:584
	v_and_b32_e32 v0, 0x2000, v62
	v_cmp_ne_u32_e32 vcc, 0, v0
	s_and_saveexec_b64 s[28:29], vcc
	s_cbranch_execz .LBB6_525
; %bb.524:                              ;   in Loop: Header=BB6_498 Depth=2
	ds_read_b64 v[0:1], v0 offset:872
	s_waitcnt lgkmcnt(0)
	v_add_co_u32_e32 v0, vcc, 1, v0
	v_addc_co_u32_e32 v1, vcc, 0, v1, vcc
	ds_write_b64 v0, v[0:1] offset:872
.LBB6_525:                              ;   in Loop: Header=BB6_498 Depth=2
	s_or_b64 exec, exec, s[28:29]
	v_mov_b32_e32 v51, v9
	v_mov_b32_e32 v50, v8
.LBB6_526:                              ;   in Loop: Header=BB6_498 Depth=2
	s_or_b64 exec, exec, s[40:41]
	s_and_saveexec_b64 s[28:29], s[10:11]
	s_cbranch_execz .LBB6_545
; %bb.527:                              ;   in Loop: Header=BB6_498 Depth=2
	s_and_saveexec_b64 s[40:41], s[56:57]
	s_xor_b64 s[40:41], exec, s[40:41]
	s_cbranch_execz .LBB6_542
; %bb.528:                              ;   in Loop: Header=BB6_498 Depth=2
	s_and_saveexec_b64 s[42:43], s[16:17]
	s_cbranch_execz .LBB6_541
; %bb.529:                              ;   in Loop: Header=BB6_498 Depth=2
	s_mov_b64 s[92:93], exec
	v_mbcnt_lo_u32_b32 v0, s92, 0
	v_mbcnt_hi_u32_b32 v0, s93, v0
	v_cmp_eq_u32_e32 vcc, 0, v0
	s_waitcnt vmcnt(0) lgkmcnt(0)
	buffer_wbinvl1_vol
	s_and_saveexec_b64 s[90:91], vcc
	s_cbranch_execz .LBB6_531
; %bb.530:                              ;   in Loop: Header=BB6_498 Depth=2
	s_bcnt1_i32_b64 s92, s[92:93]
	v_mov_b32_e32 v0, s92
	v_mov_b32_e32 v1, v23
	ds_add_u64 v0, v[0:1]
	s_trap 2
.LBB6_531:                              ;   in Loop: Header=BB6_498 Depth=2
	s_or_b64 exec, exec, s[90:91]
	s_trap 2
	ds_read_b64 v[0:1], v0
	s_waitcnt lgkmcnt(0)
	v_add_co_u32_e32 v12, vcc, v12, v49
	v_addc_co_u32_e32 v13, vcc, 0, v13, vcc
	v_cmp_lt_u64_e32 vcc, v[0:1], v[12:13]
	s_and_saveexec_b64 s[90:91], vcc
	s_cbranch_execz .LBB6_540
; %bb.532:                              ;   in Loop: Header=BB6_498 Depth=2
	s_mov_b32 s38, 0
	s_mov_b64 s[92:93], 0
                                        ; implicit-def: $sgpr94_sgpr95
                                        ; implicit-def: $sgpr30_sgpr31
	s_branch .LBB6_534
.LBB6_533:                              ;   in Loop: Header=BB6_534 Depth=3
	s_or_b64 exec, exec, s[36:37]
	s_and_b64 vcc, exec, vcc
	s_or_b64 s[92:93], vcc, s[92:93]
	s_andn2_b64 s[94:95], s[94:95], exec
	s_and_b64 vcc, s[30:31], exec
	s_or_b64 s[94:95], s[94:95], vcc
	s_andn2_b64 exec, exec, s[92:93]
	s_cbranch_execz .LBB6_538
.LBB6_534:                              ;   Parent Loop BB6_47 Depth=1
                                        ;     Parent Loop BB6_498 Depth=2
                                        ; =>    This Inner Loop Header: Depth=3
	s_add_i32 s38, s38, 1
	s_cmpk_lg_i32 s38, 0x2710
	s_cselect_b64 s[34:35], -1, 0
	s_and_b64 vcc, exec, s[34:35]
	s_cbranch_vccz .LBB6_536
; %bb.535:                              ;   in Loop: Header=BB6_534 Depth=3
	s_mov_b64 vcc, -1
	s_or_b64 s[30:31], s[30:31], exec
	s_and_saveexec_b64 s[36:37], s[34:35]
	s_cbranch_execz .LBB6_533
	s_branch .LBB6_537
.LBB6_536:                              ;   in Loop: Header=BB6_534 Depth=3
	s_trap 2
	ds_read_b64 v[0:1], v0
	s_andn2_b64 s[34:35], s[34:35], exec
	s_mov_b32 s38, 0
	s_waitcnt lgkmcnt(0)
	flat_load_dword v0, v[0:1] glc
	s_waitcnt vmcnt(0) lgkmcnt(0)
	buffer_wbinvl1_vol
	v_cmp_eq_u32_e32 vcc, 0, v0
	s_and_b64 vcc, vcc, exec
	s_or_b64 s[34:35], s[34:35], vcc
	s_mov_b64 vcc, -1
	s_or_b64 s[30:31], s[30:31], exec
	s_and_saveexec_b64 s[36:37], s[34:35]
	s_cbranch_execz .LBB6_533
.LBB6_537:                              ;   in Loop: Header=BB6_534 Depth=3
	s_sleep 1
	s_trap 2
	ds_read_b64 v[0:1], v0
	s_waitcnt lgkmcnt(0)
	s_andn2_b64 s[30:31], s[30:31], exec
	v_cmp_ge_u64_e32 vcc, v[0:1], v[12:13]
	s_orn2_b64 vcc, vcc, exec
	s_branch .LBB6_533
.LBB6_538:                              ;   in Loop: Header=BB6_498 Depth=2
	s_or_b64 exec, exec, s[92:93]
	s_and_saveexec_b64 s[92:93], s[94:95]
	s_xor_b64 s[92:93], exec, s[92:93]
	s_cbranch_execz .LBB6_540
; %bb.539:                              ;   in Loop: Header=BB6_498 Depth=2
	ds_write_b32 v0, v47
	s_trap 2
.LBB6_540:                              ;   in Loop: Header=BB6_498 Depth=2
	s_or_b64 exec, exec, s[90:91]
	;;#ASMSTART
	s_wakeup
	;;#ASMEND
.LBB6_541:                              ;   in Loop: Header=BB6_498 Depth=2
	s_or_b64 exec, exec, s[42:43]
.LBB6_542:                              ;   in Loop: Header=BB6_498 Depth=2
	s_andn2_saveexec_b64 s[40:41], s[40:41]
	s_cbranch_execz .LBB6_544
; %bb.543:                              ;   in Loop: Header=BB6_498 Depth=2
	s_waitcnt vmcnt(0) lgkmcnt(0)
	buffer_wbinvl1_vol
	s_barrier
.LBB6_544:                              ;   in Loop: Header=BB6_498 Depth=2
	s_or_b64 exec, exec, s[40:41]
.LBB6_545:                              ;   in Loop: Header=BB6_498 Depth=2
	s_or_b64 exec, exec, s[28:29]
	s_trap 2
	ds_read_b32 v0, v0
	v_and_b32_e32 v1, 0x4000, v62
	v_cmp_ne_u32_e32 vcc, 0, v1
	s_xor_b64 s[28:29], s[6:7], -1
	s_and_b64 s[40:41], s[28:29], vcc
	s_and_saveexec_b64 s[28:29], s[40:41]
	s_cbranch_execz .LBB6_564
; %bb.546:                              ;   in Loop: Header=BB6_498 Depth=2
	s_and_saveexec_b64 s[40:41], s[56:57]
	s_xor_b64 s[40:41], exec, s[40:41]
	s_cbranch_execz .LBB6_561
; %bb.547:                              ;   in Loop: Header=BB6_498 Depth=2
	s_and_saveexec_b64 s[42:43], s[16:17]
	s_cbranch_execz .LBB6_560
; %bb.548:                              ;   in Loop: Header=BB6_498 Depth=2
	s_mov_b64 s[92:93], exec
	v_mbcnt_lo_u32_b32 v1, s92, 0
	v_mbcnt_hi_u32_b32 v1, s93, v1
	v_cmp_eq_u32_e32 vcc, 0, v1
	s_waitcnt vmcnt(0) lgkmcnt(0)
	buffer_wbinvl1_vol
	s_and_saveexec_b64 s[90:91], vcc
	s_cbranch_execz .LBB6_550
; %bb.549:                              ;   in Loop: Header=BB6_498 Depth=2
	s_bcnt1_i32_b64 s92, s[92:93]
	v_mov_b32_e32 v1, s92
	v_mov_b32_e32 v2, v23
	ds_add_u64 v0, v[1:2]
	s_trap 2
.LBB6_550:                              ;   in Loop: Header=BB6_498 Depth=2
	s_or_b64 exec, exec, s[90:91]
	s_trap 2
	ds_read_b64 v[1:2], v0
	s_waitcnt lgkmcnt(0)
	v_add_co_u32_e32 v12, vcc, v12, v49
	v_addc_co_u32_e32 v13, vcc, 0, v13, vcc
	v_cmp_lt_u64_e32 vcc, v[1:2], v[12:13]
	s_and_saveexec_b64 s[90:91], vcc
	s_cbranch_execz .LBB6_559
; %bb.551:                              ;   in Loop: Header=BB6_498 Depth=2
	s_mov_b32 s38, 0
	s_mov_b64 s[92:93], 0
                                        ; implicit-def: $sgpr94_sgpr95
                                        ; implicit-def: $sgpr30_sgpr31
	s_branch .LBB6_553
.LBB6_552:                              ;   in Loop: Header=BB6_553 Depth=3
	s_or_b64 exec, exec, s[36:37]
	s_and_b64 vcc, exec, vcc
	s_or_b64 s[92:93], vcc, s[92:93]
	s_andn2_b64 s[94:95], s[94:95], exec
	s_and_b64 vcc, s[30:31], exec
	s_or_b64 s[94:95], s[94:95], vcc
	s_andn2_b64 exec, exec, s[92:93]
	s_cbranch_execz .LBB6_557
.LBB6_553:                              ;   Parent Loop BB6_47 Depth=1
                                        ;     Parent Loop BB6_498 Depth=2
                                        ; =>    This Inner Loop Header: Depth=3
	s_add_i32 s38, s38, 1
	s_cmpk_lg_i32 s38, 0x2710
	s_cselect_b64 s[34:35], -1, 0
	s_and_b64 vcc, exec, s[34:35]
	s_cbranch_vccz .LBB6_555
; %bb.554:                              ;   in Loop: Header=BB6_553 Depth=3
	s_mov_b64 vcc, -1
	s_or_b64 s[30:31], s[30:31], exec
	s_and_saveexec_b64 s[36:37], s[34:35]
	s_cbranch_execz .LBB6_552
	s_branch .LBB6_556
.LBB6_555:                              ;   in Loop: Header=BB6_553 Depth=3
	s_trap 2
	ds_read_b64 v[1:2], v0
	s_andn2_b64 s[34:35], s[34:35], exec
	s_mov_b32 s38, 0
	s_waitcnt lgkmcnt(0)
	flat_load_dword v1, v[1:2] glc
	s_waitcnt vmcnt(0) lgkmcnt(0)
	buffer_wbinvl1_vol
	v_cmp_eq_u32_e32 vcc, 0, v1
	s_and_b64 vcc, vcc, exec
	s_or_b64 s[34:35], s[34:35], vcc
	s_mov_b64 vcc, -1
	s_or_b64 s[30:31], s[30:31], exec
	s_and_saveexec_b64 s[36:37], s[34:35]
	s_cbranch_execz .LBB6_552
.LBB6_556:                              ;   in Loop: Header=BB6_553 Depth=3
	s_sleep 1
	s_trap 2
	ds_read_b64 v[1:2], v0
	s_waitcnt lgkmcnt(0)
	s_andn2_b64 s[30:31], s[30:31], exec
	v_cmp_ge_u64_e32 vcc, v[1:2], v[12:13]
	s_orn2_b64 vcc, vcc, exec
	s_branch .LBB6_552
.LBB6_557:                              ;   in Loop: Header=BB6_498 Depth=2
	s_or_b64 exec, exec, s[92:93]
	s_and_saveexec_b64 s[92:93], s[94:95]
	s_xor_b64 s[92:93], exec, s[92:93]
	s_cbranch_execz .LBB6_559
; %bb.558:                              ;   in Loop: Header=BB6_498 Depth=2
	ds_write_b32 v0, v47
	s_trap 2
.LBB6_559:                              ;   in Loop: Header=BB6_498 Depth=2
	s_or_b64 exec, exec, s[90:91]
	;;#ASMSTART
	s_wakeup
	;;#ASMEND
.LBB6_560:                              ;   in Loop: Header=BB6_498 Depth=2
	s_or_b64 exec, exec, s[42:43]
.LBB6_561:                              ;   in Loop: Header=BB6_498 Depth=2
	s_andn2_saveexec_b64 s[40:41], s[40:41]
	s_cbranch_execz .LBB6_563
; %bb.562:                              ;   in Loop: Header=BB6_498 Depth=2
	s_waitcnt vmcnt(0) lgkmcnt(0)
	buffer_wbinvl1_vol
	s_barrier
.LBB6_563:                              ;   in Loop: Header=BB6_498 Depth=2
	s_or_b64 exec, exec, s[40:41]
.LBB6_564:                              ;   in Loop: Header=BB6_498 Depth=2
	s_or_b64 exec, exec, s[28:29]
	s_trap 2
	s_waitcnt lgkmcnt(0)
	ds_read_b64 v[40:41], v0
	s_waitcnt lgkmcnt(0)
	v_cmp_eq_u64_e32 vcc, 0, v[40:41]
	s_cbranch_vccnz .LBB6_573
; %bb.565:                              ;   in Loop: Header=BB6_498 Depth=2
	s_trap 2
	ds_read_b64 v[1:2], v0
	s_waitcnt lgkmcnt(0)
	buffer_store_dword v1, off, s[0:3], s33 offset:212 ; 4-byte Folded Spill
	s_nop 0
	buffer_store_dword v2, off, s[0:3], s33 offset:216 ; 4-byte Folded Spill
	v_cmp_eq_u64_e32 vcc, 0, v[1:2]
	s_cbranch_vccnz .LBB6_573
; %bb.566:                              ;   in Loop: Header=BB6_498 Depth=2
	s_trap 2
	s_waitcnt vmcnt(0)
	ds_read_b64 v[44:45], v0
	v_cmp_eq_u32_e32 vcc, 0, v0
	v_cndmask_b32_e32 v42, 0, v55, vcc
	v_lshlrev_b32_e32 v54, 2, v42
	s_waitcnt lgkmcnt(0)
	v_cmp_ne_u64_e32 vcc, 0, v[44:45]
	s_cbranch_vccz .LBB6_578
; %bb.567:                              ;   in Loop: Header=BB6_498 Depth=2
	s_mov_b64 s[40:41], -1
	s_and_saveexec_b64 s[28:29], s[22:23]
	s_cbranch_execz .LBB6_569
; %bb.568:                              ;   in Loop: Header=BB6_498 Depth=2
	ds_read_b32 v0, v0 offset:720
	s_waitcnt lgkmcnt(0)
	v_and_b32_e32 v0, 15, v0
	v_cmp_eq_u32_e32 vcc, 0, v0
	s_orn2_b64 s[40:41], vcc, exec
.LBB6_569:                              ;   in Loop: Header=BB6_498 Depth=2
	s_or_b64 exec, exec, s[28:29]
	s_and_saveexec_b64 s[28:29], s[22:23]
	s_cbranch_execz .LBB6_571
; %bb.570:                              ;   in Loop: Header=BB6_498 Depth=2
	ds_read_b32 v0, v0 offset:784
	s_waitcnt lgkmcnt(0)
	v_and_b32_e32 v0, 15, v0
	v_cmp_eq_u32_e32 vcc, 0, v0
	s_and_b64 s[42:43], s[40:41], vcc
	s_andn2_b64 s[40:41], s[40:41], exec
	s_and_b64 s[42:43], s[42:43], exec
	s_or_b64 s[40:41], s[40:41], s[42:43]
.LBB6_571:                              ;   in Loop: Header=BB6_498 Depth=2
	s_or_b64 exec, exec, s[28:29]
	buffer_load_dword v8, off, s[0:3], s33 offset:80 ; 4-byte Folded Reload
	s_xor_b64 s[40:41], s[40:41], -1
	v_cndmask_b32_e64 v1, 0, 1, s[40:41]
	s_mov_b64 s[28:29], -1
	v_mov_b32_e32 v0, 0
	v_cmp_ne_u32_e32 vcc, 0, v1
	v_mov_b32_e32 v34, v54
	v_mov_b32_e32 v35, v32
	s_cbranch_vccz .LBB6_580
; %bb.572:                              ;   in Loop: Header=BB6_498 Depth=2
	s_and_saveexec_b64 s[42:43], s[28:29]
	s_cbranch_execnz .LBB6_595
	s_branch .LBB6_605
.LBB6_573:                              ;   in Loop: Header=BB6_498 Depth=2
	s_mov_b64 s[28:29], 0
	s_and_saveexec_b64 s[40:41], s[10:11]
	s_cbranch_execnz .LBB6_634
.LBB6_574:                              ;   in Loop: Header=BB6_498 Depth=2
	s_or_b64 exec, exec, s[40:41]
                                        ; implicit-def: $vgpr0
	s_and_saveexec_b64 s[40:41], s[24:25]
	s_xor_b64 s[40:41], exec, s[40:41]
	s_cbranch_execz .LBB6_652
.LBB6_575:                              ;   in Loop: Header=BB6_498 Depth=2
	v_and_b32_e32 v1, 16, v62
	v_cmp_ne_u32_e32 vcc, 0, v1
	v_and_b32_e32 v0, 16, v62
	s_and_b64 s[42:43], vcc, s[28:29]
	s_and_saveexec_b64 s[28:29], s[42:43]
	s_cbranch_execz .LBB6_577
; %bb.576:                              ;   in Loop: Header=BB6_498 Depth=2
	v_mov_b32_e32 v0, 1
	s_waitcnt vmcnt(0) lgkmcnt(0)
	buffer_wbinvl1_vol
.LBB6_577:                              ;   in Loop: Header=BB6_498 Depth=2
	s_or_b64 exec, exec, s[28:29]
	s_andn2_saveexec_b64 s[28:29], s[40:41]
	s_cbranch_execz .LBB6_671
	s_branch .LBB6_653
.LBB6_578:                              ;   in Loop: Header=BB6_498 Depth=2
	buffer_load_dword v25, off, s[0:3], s33 offset:104 ; 4-byte Folded Reload
	buffer_load_dword v45, off, s[0:3], s33 offset:108 ; 4-byte Folded Reload
	s_cbranch_execnz .LBB6_606
.LBB6_579:                              ;   in Loop: Header=BB6_498 Depth=2
	v_cmp_lt_i32_e64 s[28:29], 0, v42
	s_and_saveexec_b64 s[40:41], s[10:11]
	s_cbranch_execnz .LBB6_634
	s_branch .LBB6_574
.LBB6_580:                              ;   in Loop: Header=BB6_498 Depth=2
	buffer_load_dword v1, off, s[0:3], s33 offset:80 ; 4-byte Folded Reload
	v_ashrrev_i32_e32 v0, 31, v54
	v_lshrrev_b32_e32 v0, 20, v0
	v_add_u32_e32 v0, v54, v0
	v_ashrrev_i32_e32 v0, 12, v0
	s_waitcnt vmcnt(0)
	v_sub_u32_e32 v39, v0, v1
	v_cmp_lt_i32_e32 vcc, 0, v39
	s_and_saveexec_b64 s[28:29], vcc
	s_cbranch_execz .LBB6_584
; %bb.581:                              ;   in Loop: Header=BB6_498 Depth=2
	buffer_store_dword v54, off, s[0:3], s33 offset:256 ; 4-byte Folded Spill
	buffer_store_dword v42, off, s[0:3], s33 offset:268 ; 4-byte Folded Spill
	;; [unrolled: 1-line block ×3, first 2 shown]
	s_nop 0
	buffer_store_dword v54, off, s[0:3], s33 offset:264 ; 4-byte Folded Spill
	buffer_store_dword v55, off, s[0:3], s33 offset:248 ; 4-byte Folded Spill
	s_nop 0
	buffer_store_dword v56, off, s[0:3], s33 offset:252 ; 4-byte Folded Spill
	buffer_store_dword v50, off, s[0:3], s33 offset:120 ; 4-byte Folded Spill
	s_nop 0
	buffer_store_dword v51, off, s[0:3], s33 offset:124 ; 4-byte Folded Spill
	s_trap 2
	buffer_load_dword v20, off, s[0:3], s33 offset:104 ; 4-byte Folded Reload
	buffer_load_dword v21, off, s[0:3], s33 offset:108 ; 4-byte Folded Reload
	ds_read_b64 v[1:2], v0
	v_mov_b32_e32 v37, v46
	v_mov_b32_e32 v47, v45
	;; [unrolled: 1-line block ×4, first 2 shown]
	s_mov_b64 s[40:41], 0
	v_mov_b32_e32 v46, v44
	v_mov_b32_e32 v36, v49
	s_waitcnt vmcnt(1)
	v_add_co_u32_e32 v8, vcc, v40, v20
	buffer_store_dword v40, off, s[0:3], s33 offset:272 ; 4-byte Folded Spill
	s_nop 0
	buffer_store_dword v41, off, s[0:3], s33 offset:276 ; 4-byte Folded Spill
	buffer_load_dword v56, off, s[0:3], s33 offset:212 ; 4-byte Folded Reload
	buffer_load_dword v57, off, s[0:3], s33 offset:216 ; 4-byte Folded Reload
	s_waitcnt vmcnt(4)
	v_addc_co_u32_e32 v9, vcc, v41, v21, vcc
	s_waitcnt lgkmcnt(0)
	v_add_co_u32_e32 v10, vcc, v1, v20
	v_addc_co_u32_e32 v11, vcc, v2, v21, vcc
.LBB6_582:                              ;   Parent Loop BB6_47 Depth=1
                                        ;     Parent Loop BB6_498 Depth=2
                                        ; =>    This Inner Loop Header: Depth=3
	global_load_dwordx4 v[1:4], v[10:11], off glc slc
	global_load_dwordx4 v[14:17], v[8:9], off glc slc
	global_load_dwordx4 v[22:25], v[8:9], off offset:1024 glc slc
	global_load_dwordx4 v[28:31], v[10:11], off offset:1024 glc slc
	;; [unrolled: 1-line block ×6, first 2 shown]
	s_waitcnt vmcnt(9)
	v_add_co_u32_e32 v5, vcc, v20, v56
	s_waitcnt vmcnt(8)
	v_addc_co_u32_e32 v6, vcc, v21, v57, vcc
	v_add_co_u32_e32 v18, vcc, v20, v46
	v_addc_co_u32_e32 v19, vcc, v21, v47, vcc
	v_add_co_u32_e32 v8, vcc, v8, v37
	;; [unrolled: 2-line block ×5, first 2 shown]
	v_sub_u32_e32 v39, v39, v36
	v_addc_co_u32_e32 v47, vcc, 0, v47, vcc
	v_cmp_gt_i32_e32 vcc, 1, v39
	s_or_b64 s[40:41], vcc, s[40:41]
	s_waitcnt vmcnt(6)
	v_mul_f32_e32 v1, v14, v1
	v_mul_f32_e32 v2, v15, v2
	v_mul_f32_e32 v3, v16, v3
	v_mul_f32_e32 v4, v17, v4
	s_waitcnt vmcnt(4)
	v_mul_f32_e32 v14, v22, v28
	v_mul_f32_e32 v15, v23, v29
	v_mul_f32_e32 v16, v24, v30
	v_mul_f32_e32 v17, v25, v31
	;; [unrolled: 5-line block ×4, first 2 shown]
	global_store_dwordx4 v[5:6], v[1:4], off glc slc
	global_store_dwordx4 v[5:6], v[14:17], off offset:1024 glc slc
	global_store_dwordx4 v[5:6], v[22:25], off offset:2048 glc slc
	;; [unrolled: 1-line block ×3, first 2 shown]
	global_store_dwordx4 v[18:19], v[1:4], off glc slc
	global_store_dwordx4 v[18:19], v[14:17], off offset:1024 glc slc
	global_store_dwordx4 v[18:19], v[22:25], off offset:2048 glc slc
	;; [unrolled: 1-line block ×3, first 2 shown]
	s_andn2_b64 exec, exec, s[40:41]
	s_cbranch_execnz .LBB6_582
; %bb.583:                              ;   in Loop: Header=BB6_498 Depth=2
	s_or_b64 exec, exec, s[40:41]
	buffer_load_dword v32, off, s[0:3], s33 offset:220 ; 4-byte Folded Reload
	buffer_load_dword v19, off, s[0:3], s33 offset:144 ; 4-byte Folded Reload
	;; [unrolled: 1-line block ×25, first 2 shown]
	v_mov_b32_e32 v23, v7
	v_mov_b32_e32 v49, v36
	;; [unrolled: 1-line block ×5, first 2 shown]
.LBB6_584:                              ;   in Loop: Header=BB6_498 Depth=2
	s_or_b64 exec, exec, s[28:29]
	v_lshlrev_b32_e32 v38, 12, v0
	s_waitcnt vmcnt(0)
	v_cmp_ne_u32_e32 vcc, v54, v38
	s_mov_b64 s[28:29], 0
	v_mov_b32_e32 v0, 0
                                        ; implicit-def: $vgpr34
                                        ; implicit-def: $vgpr35
                                        ; implicit-def: $vgpr8
	s_and_saveexec_b64 s[90:91], vcc
	s_cbranch_execz .LBB6_594
; %bb.585:                              ;   in Loop: Header=BB6_498 Depth=2
	buffer_load_dword v2, off, s[0:3], s33 offset:180 ; 4-byte Folded Reload
	v_lshlrev_b32_e32 v0, 6, v39
	v_sub_u32_e32 v1, v54, v38
	v_mov_b32_e32 v5, v50
	v_mov_b32_e32 v6, v51
	s_waitcnt vmcnt(0)
	v_sub_u32_e32 v0, v2, v0
	v_ashrrev_i32_e32 v2, 31, v0
	v_lshrrev_b32_e32 v2, 26, v2
	v_add_u32_e32 v2, v0, v2
	v_ashrrev_i32_e32 v3, 6, v2
	v_and_b32_e32 v2, 0xffffffc0, v2
	v_sub_u32_e32 v7, v0, v2
	v_ashrrev_i32_e32 v2, 31, v1
	v_lshrrev_b32_e32 v2, 22, v2
	v_add_u32_e32 v2, v1, v2
	v_and_b32_e32 v14, 0xfffffc00, v2
	v_lshlrev_b32_e32 v0, 4, v7
	v_sub_u32_e32 v51, v1, v14
	v_lshl_add_u32 v8, v3, 10, v0
	v_ashrrev_i32_e32 v4, 10, v2
	v_cmp_lt_i32_e64 s[28:29], 15, v51
	v_sub_u32_e32 v0, v1, v8
	v_addc_co_u32_e64 v1, vcc, 0, v4, s[28:29]
	v_sub_u32_e32 v39, v1, v3
	v_cmp_lt_i32_e32 vcc, 15, v0
	s_and_saveexec_b64 s[92:93], vcc
	s_cbranch_execz .LBB6_591
; %bb.586:                              ;   in Loop: Header=BB6_498 Depth=2
	buffer_load_dword v1, off, s[0:3], s33 offset:212 ; 4-byte Folded Reload
	buffer_load_dword v2, off, s[0:3], s33 offset:216 ; 4-byte Folded Reload
	v_add_u32_e32 v3, v8, v38
	v_ashrrev_i32_e32 v4, 31, v3
	s_trap 2
	s_mov_b64 s[94:95], 0
	s_waitcnt vmcnt(1)
	v_add_co_u32_e32 v34, vcc, v3, v1
	s_waitcnt vmcnt(0)
	v_addc_co_u32_e32 v35, vcc, v4, v2, vcc
	ds_read_b64 v[1:2], v0
	v_add_co_u32_e32 v48, vcc, v3, v44
	v_addc_co_u32_e32 v49, vcc, v4, v45, vcc
	v_add_co_u32_e32 v46, vcc, v3, v40
	v_addc_co_u32_e32 v47, vcc, v4, v41, vcc
	s_waitcnt lgkmcnt(0)
	v_add_co_u32_e32 v56, vcc, v1, v3
	v_addc_co_u32_e32 v57, vcc, v2, v4, vcc
.LBB6_587:                              ;   Parent Loop BB6_47 Depth=1
                                        ;     Parent Loop BB6_498 Depth=2
                                        ; =>    This Loop Header: Depth=3
                                        ;         Child Loop BB6_588 Depth 4
	global_load_dwordx4 v[1:4], v[46:47], off glc slc
	global_load_dwordx4 v[8:11], v[56:57], off glc slc
	s_mov_b64 s[30:31], -1
	s_mov_b64 s[34:35], 0
	s_waitcnt vmcnt(0)
	v_mul_f32_e32 v8, v1, v8
	v_mul_f32_e32 v9, v2, v9
	;; [unrolled: 1-line block ×4, first 2 shown]
.LBB6_588:                              ;   Parent Loop BB6_47 Depth=1
                                        ;     Parent Loop BB6_498 Depth=2
                                        ;       Parent Loop BB6_587 Depth=3
                                        ; =>      This Inner Loop Header: Depth=4
	s_cmp_eq_u32 s34, 1
	s_cselect_b64 s[40:41], -1, 0
	v_cndmask_b32_e64 v2, v35, v49, s[40:41]
	v_cndmask_b32_e64 v1, v34, v48, s[40:41]
	global_store_dwordx4 v[1:2], v[8:11], off glc slc
	v_add_co_u32_e32 v1, vcc, 0x400, v1
	s_cmp_eq_u32 s34, 0
	v_addc_co_u32_e32 v2, vcc, 0, v2, vcc
	s_cselect_b64 vcc, -1, 0
	s_and_b64 s[42:43], exec, s[30:31]
	s_mov_b64 s[34:35], 1
	v_cndmask_b32_e64 v48, v48, v1, s[40:41]
	s_mov_b64 s[30:31], 0
	v_cndmask_b32_e64 v49, v49, v2, s[40:41]
	v_cndmask_b32_e32 v35, v35, v2, vcc
	v_cndmask_b32_e32 v34, v34, v1, vcc
	s_mov_b64 vcc, s[42:43]
	s_cbranch_vccnz .LBB6_588
; %bb.589:                              ;   in Loop: Header=BB6_587 Depth=3
	buffer_load_dword v1, off, s[0:3], s33 offset:208 ; 4-byte Folded Reload
	buffer_load_dword v2, off, s[0:3], s33 offset:100 ; 4-byte Folded Reload
	v_sub_u32_e32 v0, v0, v24
	s_waitcnt vmcnt(1)
	v_add_co_u32_e32 v46, vcc, v46, v1
	s_waitcnt vmcnt(0)
	v_addc_co_u32_e32 v47, vcc, v47, v2, vcc
	v_add_co_u32_e32 v56, vcc, v56, v1
	buffer_load_dword v1, off, s[0:3], s33 offset:96 ; 4-byte Folded Reload
	v_addc_co_u32_e32 v57, vcc, v57, v2, vcc
	v_add_co_u32_e32 v34, vcc, v34, v17
	s_waitcnt vmcnt(0)
	v_addc_co_u32_e32 v35, vcc, v35, v1, vcc
	v_add_co_u32_e32 v48, vcc, v48, v17
	v_addc_co_u32_e32 v49, vcc, v49, v1, vcc
	buffer_load_dword v1, off, s[0:3], s33 offset:84 ; 4-byte Folded Reload
	v_cmp_gt_i32_e32 vcc, 16, v0
	s_or_b64 s[94:95], vcc, s[94:95]
	s_waitcnt vmcnt(0)
	v_sub_u32_e32 v39, v39, v1
	s_andn2_b64 exec, exec, s[94:95]
	s_cbranch_execnz .LBB6_587
; %bb.590:                              ;   in Loop: Header=BB6_498 Depth=2
	s_or_b64 exec, exec, s[94:95]
	buffer_load_dword v49, off, s[0:3], s33 offset:84 ; 4-byte Folded Reload
	buffer_load_dword v18, off, s[0:3], s33 offset:128 ; 4-byte Folded Reload
	;; [unrolled: 1-line block ×4, first 2 shown]
	v_mov_b32_e32 v47, 1
.LBB6_591:                              ;   in Loop: Header=BB6_498 Depth=2
	s_or_b64 exec, exec, s[92:93]
	v_and_b32_e32 v9, 12, v54
	v_cndmask_b32_e64 v34, v51, v9, s[28:29]
	v_mov_b32_e32 v0, 0
	v_cmp_ne_u32_e32 vcc, 0, v34
	s_mov_b64 s[42:43], 0
                                        ; implicit-def: $vgpr35
                                        ; implicit-def: $vgpr8
	s_and_saveexec_b64 s[40:41], vcc
	s_cbranch_execz .LBB6_593
; %bb.592:                              ;   in Loop: Header=BB6_498 Depth=2
	v_cmp_lt_i32_e32 vcc, 0, v39
	s_waitcnt vmcnt(3)
	v_cndmask_b32_e32 v1, 0, v49, vcc
	v_sub_u32_e32 v1, v1, v39
	v_lshl_add_u32 v35, v1, 6, v7
	v_ashrrev_i32_e32 v1, 31, v35
	v_sub_u32_e32 v0, v51, v9
	v_lshrrev_b32_e32 v1, 26, v1
	v_cndmask_b32_e64 v0, 0, v0, s[28:29]
	v_add_u32_e32 v1, v35, v1
	v_add3_u32 v0, v14, v38, v0
	v_ashrrev_i32_e32 v8, 6, v1
	s_mov_b64 s[42:43], exec
.LBB6_593:                              ;   in Loop: Header=BB6_498 Depth=2
	s_or_b64 exec, exec, s[40:41]
	v_mov_b32_e32 v51, v6
	s_and_b64 s[28:29], s[42:43], exec
	v_mov_b32_e32 v50, v5
.LBB6_594:                              ;   in Loop: Header=BB6_498 Depth=2
	s_or_b64 exec, exec, s[90:91]
	s_and_saveexec_b64 s[42:43], s[28:29]
	s_cbranch_execz .LBB6_605
.LBB6_595:                              ;   in Loop: Header=BB6_498 Depth=2
	v_ashrrev_i32_e32 v1, 31, v34
	v_lshrrev_b32_e32 v1, 21, v1
	v_mov_b32_e32 v36, v50
	v_add_u32_e32 v1, v34, v1
	v_mov_b32_e32 v37, v51
	v_ashrrev_i32_e32 v51, 11, v1
	s_waitcnt vmcnt(0)
	v_sub_u32_e32 v38, v51, v8
	v_ashrrev_i32_e32 v1, 31, v35
	v_cmp_lt_i32_e32 vcc, 0, v38
	v_lshrrev_b32_e32 v39, 26, v1
	s_and_saveexec_b64 s[28:29], vcc
	s_cbranch_execz .LBB6_599
; %bb.596:                              ;   in Loop: Header=BB6_498 Depth=2
	v_add_u32_e32 v1, v35, v39
	v_and_b32_e32 v1, 0x3fffffc0, v1
	v_sub_u32_e32 v1, v35, v1
	v_lshlrev_b32_e32 v1, 2, v1
	v_lshlrev_b32_e32 v2, 11, v8
	v_add3_u32 v3, v1, v0, v2
	buffer_load_dword v1, off, s[0:3], s33 offset:212 ; 4-byte Folded Reload
	buffer_load_dword v2, off, s[0:3], s33 offset:216 ; 4-byte Folded Reload
	s_trap 2
	buffer_load_dword v25, off, s[0:3], s33 offset:160 ; 4-byte Folded Reload
	v_ashrrev_i32_e32 v4, 31, v3
	v_mov_b32_e32 v33, v18
	s_mov_b64 s[40:41], 0
	s_waitcnt vmcnt(2)
	v_add_co_u32_e32 v8, vcc, v3, v1
	s_waitcnt vmcnt(1)
	v_addc_co_u32_e32 v9, vcc, v4, v2, vcc
	ds_read_b64 v[1:2], v0
	v_add_co_u32_e32 v10, vcc, v3, v44
	v_addc_co_u32_e32 v11, vcc, v4, v45, vcc
	v_add_co_u32_e32 v46, vcc, v3, v40
	v_addc_co_u32_e32 v47, vcc, v4, v41, vcc
	s_waitcnt lgkmcnt(0)
	v_add_co_u32_e32 v56, vcc, v1, v3
	v_addc_co_u32_e32 v57, vcc, v2, v4, vcc
.LBB6_597:                              ;   Parent Loop BB6_47 Depth=1
                                        ;     Parent Loop BB6_498 Depth=2
                                        ; =>    This Inner Loop Header: Depth=3
	flat_load_dword v1, v[46:47] glc slc
	flat_load_dword v2, v[46:47] offset:256 glc slc
	flat_load_dword v3, v[46:47] offset:512 glc slc
	;; [unrolled: 1-line block ×7, first 2 shown]
	flat_load_dword v15, v[56:57] glc slc
	flat_load_dword v16, v[56:57] offset:256 glc slc
	flat_load_dword v17, v[56:57] offset:512 glc slc
	flat_load_dword v18, v[56:57] offset:768 glc slc
	flat_load_dword v19, v[56:57] offset:1024 glc slc
	flat_load_dword v20, v[56:57] offset:1280 glc slc
	flat_load_dword v21, v[56:57] offset:1536 glc slc
	flat_load_dword v22, v[56:57] offset:1792 glc slc
	s_waitcnt vmcnt(0)
	v_add_co_u32_e32 v46, vcc, v46, v25
	v_addc_co_u32_e32 v47, vcc, 0, v47, vcc
	v_add_co_u32_e32 v56, vcc, v56, v25
	v_addc_co_u32_e32 v57, vcc, 0, v57, vcc
	v_sub_u32_e32 v38, v38, v49
	v_cmp_gt_i32_e32 vcc, 1, v38
	s_or_b64 s[40:41], vcc, s[40:41]
	s_waitcnt lgkmcnt(0)
	v_mul_f32_e32 v1, v1, v15
	v_mul_f32_e32 v2, v2, v16
	;; [unrolled: 1-line block ×8, first 2 shown]
	flat_store_dword v[8:9], v1 glc slc
	flat_store_dword v[8:9], v2 offset:256 glc slc
	flat_store_dword v[8:9], v3 offset:512 glc slc
	;; [unrolled: 1-line block ×7, first 2 shown]
	flat_store_dword v[10:11], v1 glc slc
	flat_store_dword v[10:11], v2 offset:256 glc slc
	flat_store_dword v[10:11], v3 offset:512 glc slc
	flat_store_dword v[10:11], v4 offset:768 glc slc
	flat_store_dword v[10:11], v5 offset:1024 glc slc
	flat_store_dword v[10:11], v6 offset:1280 glc slc
	flat_store_dword v[10:11], v7 offset:1536 glc slc
	flat_store_dword v[10:11], v14 offset:1792 glc slc
	v_add_co_u32_e32 v8, vcc, v8, v25
	v_addc_co_u32_e32 v9, vcc, 0, v9, vcc
	v_add_co_u32_e32 v10, vcc, v10, v25
	v_addc_co_u32_e32 v11, vcc, 0, v11, vcc
	s_andn2_b64 exec, exec, s[40:41]
	s_cbranch_execnz .LBB6_597
; %bb.598:                              ;   in Loop: Header=BB6_498 Depth=2
	s_or_b64 exec, exec, s[40:41]
	buffer_load_dword v19, off, s[0:3], s33 offset:144 ; 4-byte Folded Reload
	buffer_load_dword v20, off, s[0:3], s33 offset:148 ; 4-byte Folded Reload
	;; [unrolled: 1-line block ×7, first 2 shown]
	v_mov_b32_e32 v47, 1
	v_mov_b32_e32 v18, v33
.LBB6_599:                              ;   in Loop: Header=BB6_498 Depth=2
	s_or_b64 exec, exec, s[28:29]
	v_lshlrev_b32_e32 v8, 11, v51
	v_cmp_ne_u32_e32 vcc, v34, v8
	v_mov_b32_e32 v51, v37
	s_and_b64 s[28:29], exec, vcc
	v_mov_b32_e32 v50, v36
	s_mov_b64 exec, s[28:29]
	s_cbranch_execz .LBB6_605
; %bb.600:                              ;   in Loop: Header=BB6_498 Depth=2
	v_add_u32_e32 v1, v35, v39
	v_and_b32_e32 v1, 0xffffffc0, v1
	v_sub_u32_e32 v1, v35, v1
	v_lshlrev_b32_e32 v2, 6, v38
	v_sub_u32_e32 v1, v1, v2
	v_ashrrev_i32_e32 v2, 31, v1
	v_lshrrev_b32_e32 v2, 26, v2
	v_add_u32_e32 v2, v1, v2
	v_and_b32_e32 v3, 0x3fffffc0, v2
	v_sub_u32_e32 v1, v1, v3
	v_lshlrev_b32_e32 v2, 2, v2
	v_and_b32_e32 v2, 0xffffff00, v2
	v_lshlrev_b32_e32 v1, 2, v1
	v_add3_u32 v8, v2, v1, v8
	v_sub_u32_e32 v34, v34, v8
	v_cmp_lt_i32_e32 vcc, 3, v34
	s_and_b64 exec, exec, vcc
	s_cbranch_execz .LBB6_605
; %bb.601:                              ;   in Loop: Header=BB6_498 Depth=2
	v_add_u32_e32 v3, v8, v0
	buffer_load_dword v0, off, s[0:3], s33 offset:212 ; 4-byte Folded Reload
	buffer_load_dword v1, off, s[0:3], s33 offset:216 ; 4-byte Folded Reload
	v_ashrrev_i32_e32 v4, 31, v3
	s_trap 2
	s_mov_b64 s[90:91], 0
	s_waitcnt vmcnt(0)
	v_add_co_u32_e32 v0, vcc, v3, v0
	v_addc_co_u32_e32 v35, vcc, v4, v1, vcc
	ds_read_b64 v[1:2], v0
	v_add_co_u32_e32 v38, vcc, v3, v44
	v_addc_co_u32_e32 v39, vcc, v4, v45, vcc
	v_add_co_u32_e32 v8, vcc, v3, v40
	v_addc_co_u32_e32 v9, vcc, v4, v41, vcc
	s_waitcnt lgkmcnt(0)
	v_add_co_u32_e32 v10, vcc, v1, v3
	v_addc_co_u32_e32 v11, vcc, v2, v4, vcc
.LBB6_602:                              ;   Parent Loop BB6_47 Depth=1
                                        ;     Parent Loop BB6_498 Depth=2
                                        ; =>    This Loop Header: Depth=3
                                        ;         Child Loop BB6_603 Depth 4
	flat_load_dword v1, v[8:9] glc slc
	flat_load_dword v2, v[10:11] glc slc
	s_mov_b64 s[92:93], -1
	s_mov_b64 s[94:95], 0
	s_waitcnt vmcnt(0) lgkmcnt(0)
	v_mul_f32_e32 v14, v1, v2
.LBB6_603:                              ;   Parent Loop BB6_47 Depth=1
                                        ;     Parent Loop BB6_498 Depth=2
                                        ;       Parent Loop BB6_602 Depth=3
                                        ; =>      This Inner Loop Header: Depth=4
	s_cmp_eq_u32 s94, 1
	s_cselect_b64 s[28:29], -1, 0
	v_cndmask_b32_e64 v2, v35, v39, s[28:29]
	v_cndmask_b32_e64 v1, v0, v38, s[28:29]
	flat_store_dword v[1:2], v14 glc slc
	v_add_co_u32_e32 v1, vcc, 0x100, v1
	s_cmp_eq_u32 s94, 0
	v_addc_co_u32_e32 v2, vcc, 0, v2, vcc
	s_cselect_b64 vcc, -1, 0
	s_and_b64 s[40:41], exec, s[92:93]
	s_mov_b64 s[94:95], 1
	v_cndmask_b32_e64 v38, v38, v1, s[28:29]
	s_mov_b64 s[92:93], 0
	v_cndmask_b32_e64 v39, v39, v2, s[28:29]
	v_cndmask_b32_e32 v35, v35, v2, vcc
	v_cndmask_b32_e32 v0, v0, v1, vcc
	s_mov_b64 vcc, s[40:41]
	s_cbranch_vccnz .LBB6_603
; %bb.604:                              ;   in Loop: Header=BB6_602 Depth=3
	buffer_load_dword v1, off, s[0:3], s33 offset:72 ; 4-byte Folded Reload
	buffer_load_dword v2, off, s[0:3], s33 offset:76 ; 4-byte Folded Reload
	v_sub_u32_e32 v34, v34, v16
	s_waitcnt vmcnt(0)
	v_add_co_u32_e32 v8, vcc, v8, v1
	v_addc_co_u32_e32 v9, vcc, v9, v2, vcc
	v_add_co_u32_e32 v10, vcc, v10, v1
	buffer_load_dword v1, off, s[0:3], s33 offset:64 ; 4-byte Folded Reload
	v_addc_co_u32_e32 v11, vcc, v11, v2, vcc
	buffer_load_dword v2, off, s[0:3], s33 offset:68 ; 4-byte Folded Reload
	s_waitcnt vmcnt(0)
	v_add_co_u32_e32 v0, vcc, v0, v1
	v_addc_co_u32_e32 v35, vcc, v35, v2, vcc
	v_cmp_gt_i32_e32 vcc, 4, v34
	s_or_b64 s[90:91], vcc, s[90:91]
	v_add_co_u32_e32 v38, vcc, v38, v1
	v_addc_co_u32_e32 v39, vcc, v39, v2, vcc
	s_andn2_b64 exec, exec, s[90:91]
	s_cbranch_execnz .LBB6_602
.LBB6_605:                              ;   in Loop: Header=BB6_498 Depth=2
	s_or_b64 exec, exec, s[42:43]
	buffer_load_dword v25, off, s[0:3], s33 offset:104 ; 4-byte Folded Reload
	buffer_load_dword v45, off, s[0:3], s33 offset:108 ; 4-byte Folded Reload
	s_branch .LBB6_579
.LBB6_606:                              ;   in Loop: Header=BB6_498 Depth=2
	s_mov_b64 s[28:29], -1
	s_and_saveexec_b64 s[40:41], s[22:23]
	s_cbranch_execz .LBB6_608
; %bb.607:                              ;   in Loop: Header=BB6_498 Depth=2
	ds_read_b32 v0, v0 offset:720
	s_waitcnt lgkmcnt(0)
	v_and_b32_e32 v0, 15, v0
	v_cmp_eq_u32_e32 vcc, 0, v0
	s_orn2_b64 s[28:29], vcc, exec
.LBB6_608:                              ;   in Loop: Header=BB6_498 Depth=2
	s_or_b64 exec, exec, s[40:41]
	s_and_saveexec_b64 s[40:41], s[18:19]
	s_cbranch_execz .LBB6_610
; %bb.609:                              ;   in Loop: Header=BB6_498 Depth=2
	ds_read_b32 v0, v0 offset:784
	s_waitcnt lgkmcnt(0)
	v_and_b32_e32 v0, 15, v0
	v_cmp_eq_u32_e32 vcc, 0, v0
	s_and_b64 s[42:43], s[28:29], vcc
	s_andn2_b64 s[28:29], s[28:29], exec
	s_and_b64 s[42:43], s[42:43], exec
	s_or_b64 s[28:29], s[28:29], s[42:43]
.LBB6_610:                              ;   in Loop: Header=BB6_498 Depth=2
	s_or_b64 exec, exec, s[40:41]
	s_xor_b64 s[28:29], s[28:29], -1
	v_cndmask_b32_e64 v1, 0, 1, s[28:29]
	s_mov_b64 s[42:43], -1
	v_mov_b32_e32 v0, 0
	v_cmp_ne_u32_e32 vcc, 0, v1
	s_cbranch_vccz .LBB6_612
; %bb.611:                              ;   in Loop: Header=BB6_498 Depth=2
	buffer_load_dword v8, off, s[0:3], s33 offset:80 ; 4-byte Folded Reload
	v_mov_b32_e32 v34, v32
	s_and_saveexec_b64 s[28:29], s[42:43]
	s_cbranch_execnz .LBB6_625
	s_branch .LBB6_633
.LBB6_612:                              ;   in Loop: Header=BB6_498 Depth=2
	v_ashrrev_i32_e32 v0, 31, v54
	v_lshrrev_b32_e32 v0, 20, v0
	v_add_u32_e32 v0, v54, v0
	v_ashrrev_i32_e32 v34, 12, v0
	buffer_load_dword v0, off, s[0:3], s33 offset:80 ; 4-byte Folded Reload
	s_waitcnt vmcnt(0)
	v_sub_u32_e32 v35, v34, v0
	v_cmp_lt_i32_e32 vcc, 0, v35
	s_and_saveexec_b64 s[28:29], vcc
	s_cbranch_execz .LBB6_616
; %bb.613:                              ;   in Loop: Header=BB6_498 Depth=2
	buffer_store_dword v54, off, s[0:3], s33 offset:256 ; 4-byte Folded Spill
	buffer_store_dword v55, off, s[0:3], s33 offset:248 ; 4-byte Folded Spill
	s_nop 0
	buffer_store_dword v56, off, s[0:3], s33 offset:252 ; 4-byte Folded Spill
	s_trap 2
	ds_read_b64 v[0:1], v0
	v_add_co_u32_e32 v8, vcc, v40, v25
	v_addc_co_u32_e32 v9, vcc, v41, v45, vcc
	s_waitcnt lgkmcnt(0)
	v_add_co_u32_e32 v10, vcc, v0, v25
	v_addc_co_u32_e32 v11, vcc, v1, v45, vcc
	buffer_load_dword v0, off, s[0:3], s33 offset:212 ; 4-byte Folded Reload
	buffer_load_dword v1, off, s[0:3], s33 offset:216 ; 4-byte Folded Reload
	v_mov_b32_e32 v36, v40
	v_mov_b32_e32 v18, v23
	;; [unrolled: 1-line block ×3, first 2 shown]
	s_mov_b64 s[40:41], 0
	v_mov_b32_e32 v33, v49
	s_waitcnt vmcnt(1)
	v_add_co_u32_e32 v44, vcc, v0, v25
	s_waitcnt vmcnt(0)
	v_addc_co_u32_e32 v45, vcc, v1, v45, vcc
.LBB6_614:                              ;   Parent Loop BB6_47 Depth=1
                                        ;     Parent Loop BB6_498 Depth=2
                                        ; =>    This Inner Loop Header: Depth=3
	global_load_dwordx4 v[4:7], v[10:11], off glc slc
	global_load_dwordx4 v[14:17], v[8:9], off glc slc
	global_load_dwordx4 v[22:25], v[8:9], off offset:1024 glc slc
	global_load_dwordx4 v[28:31], v[10:11], off offset:1024 glc slc
	;; [unrolled: 1-line block ×6, first 2 shown]
	buffer_load_dword v19, off, s[0:3], s33 offset:132 ; 4-byte Folded Reload
	v_sub_u32_e32 v35, v35, v33
	s_waitcnt vmcnt(7)
	v_mul_f32_e32 v4, v14, v4
	v_mul_f32_e32 v5, v15, v5
	s_waitcnt vmcnt(5)
	v_mul_f32_e32 v14, v22, v28
	v_mul_f32_e32 v6, v16, v6
	s_waitcnt vmcnt(3)
	v_mul_f32_e32 v22, v54, v46
	buffer_load_dword v46, off, s[0:3], s33 offset:132 ; 4-byte Folded Reload
	v_mul_f32_e32 v7, v17, v7
	s_waitcnt vmcnt(1)
	v_add_co_u32_e32 v8, vcc, v8, v19
	buffer_load_dword v19, off, s[0:3], s33 offset:132 ; 4-byte Folded Reload
	v_addc_co_u32_e32 v9, vcc, 0, v9, vcc
	v_mul_f32_e32 v15, v23, v29
	v_mul_f32_e32 v16, v24, v30
	;; [unrolled: 1-line block ×10, first 2 shown]
	global_store_dwordx4 v[44:45], v[4:7], off glc slc
	global_store_dwordx4 v[44:45], v[14:17], off offset:1024 glc slc
	global_store_dwordx4 v[44:45], v[22:25], off offset:2048 glc slc
	;; [unrolled: 1-line block ×3, first 2 shown]
	s_waitcnt vmcnt(4)
	v_add_co_u32_e32 v10, vcc, v10, v19
	v_addc_co_u32_e32 v11, vcc, 0, v11, vcc
	v_cmp_gt_i32_e32 vcc, 1, v35
	s_or_b64 s[40:41], vcc, s[40:41]
	v_add_co_u32_e32 v44, vcc, v44, v46
	v_addc_co_u32_e32 v45, vcc, 0, v45, vcc
	s_andn2_b64 exec, exec, s[40:41]
	s_cbranch_execnz .LBB6_614
; %bb.615:                              ;   in Loop: Header=BB6_498 Depth=2
	s_or_b64 exec, exec, s[40:41]
	buffer_load_dword v19, off, s[0:3], s33 offset:144 ; 4-byte Folded Reload
	buffer_load_dword v20, off, s[0:3], s33 offset:148 ; 4-byte Folded Reload
	;; [unrolled: 1-line block ×8, first 2 shown]
	v_mov_b32_e32 v23, v18
	buffer_load_dword v18, off, s[0:3], s33 offset:128 ; 4-byte Folded Reload
	buffer_load_dword v24, off, s[0:3], s33 offset:88 ; 4-byte Folded Reload
	;; [unrolled: 1-line block ×10, first 2 shown]
	v_mov_b32_e32 v41, v37
	v_mov_b32_e32 v49, v33
	v_mov_b32_e32 v47, 1
	v_mov_b32_e32 v40, v36
.LBB6_616:                              ;   in Loop: Header=BB6_498 Depth=2
	s_or_b64 exec, exec, s[28:29]
	v_lshlrev_b32_e32 v38, 12, v34
	s_waitcnt vmcnt(0)
	v_cmp_ne_u32_e32 vcc, v54, v38
	s_mov_b64 s[42:43], 0
	v_mov_b32_e32 v0, 0
                                        ; implicit-def: $vgpr34
                                        ; implicit-def: $vgpr8
	s_and_saveexec_b64 s[40:41], vcc
	s_cbranch_execz .LBB6_624
; %bb.617:                              ;   in Loop: Header=BB6_498 Depth=2
	buffer_load_dword v2, off, s[0:3], s33 offset:180 ; 4-byte Folded Reload
	v_lshlrev_b32_e32 v0, 6, v35
	v_sub_u32_e32 v1, v54, v38
	s_waitcnt vmcnt(0)
	v_sub_u32_e32 v0, v2, v0
	v_ashrrev_i32_e32 v2, 31, v0
	v_lshrrev_b32_e32 v2, 26, v2
	v_add_u32_e32 v2, v0, v2
	v_ashrrev_i32_e32 v3, 6, v2
	v_and_b32_e32 v2, 0xffffffc0, v2
	v_sub_u32_e32 v35, v0, v2
	v_ashrrev_i32_e32 v2, 31, v1
	v_lshrrev_b32_e32 v2, 22, v2
	v_add_u32_e32 v2, v1, v2
	v_and_b32_e32 v14, 0xfffffc00, v2
	v_lshlrev_b32_e32 v0, 4, v35
	v_sub_u32_e32 v48, v1, v14
	v_lshl_add_u32 v8, v3, 10, v0
	v_ashrrev_i32_e32 v4, 10, v2
	v_cmp_lt_i32_e32 vcc, 15, v48
	v_sub_u32_e32 v0, v1, v8
	v_addc_co_u32_e64 v1, s[28:29], 0, v4, vcc
	v_sub_u32_e32 v39, v1, v3
	v_cmp_lt_i32_e64 s[28:29], 15, v0
	s_and_saveexec_b64 s[42:43], s[28:29]
	s_cbranch_execz .LBB6_621
; %bb.618:                              ;   in Loop: Header=BB6_498 Depth=2
	s_trap 2
	ds_read_b64 v[1:2], v0
	v_add_u32_e32 v3, v8, v38
	v_ashrrev_i32_e32 v4, 31, v3
	v_add_co_u32_e64 v8, s[28:29], v3, v40
	v_addc_co_u32_e64 v9, s[28:29], v4, v41, s[28:29]
	s_waitcnt lgkmcnt(0)
	v_add_co_u32_e64 v10, s[28:29], v1, v3
	v_addc_co_u32_e64 v11, s[28:29], v2, v4, s[28:29]
	buffer_load_dword v1, off, s[0:3], s33 offset:212 ; 4-byte Folded Reload
	buffer_load_dword v2, off, s[0:3], s33 offset:216 ; 4-byte Folded Reload
	v_mov_b32_e32 v5, v23
	s_mov_b64 s[90:91], 0
	s_waitcnt vmcnt(1)
	v_add_co_u32_e64 v44, s[28:29], v3, v1
	s_waitcnt vmcnt(0)
	v_addc_co_u32_e64 v45, s[28:29], v4, v2, s[28:29]
.LBB6_619:                              ;   Parent Loop BB6_47 Depth=1
                                        ;     Parent Loop BB6_498 Depth=2
                                        ; =>    This Inner Loop Header: Depth=3
	global_load_dwordx4 v[1:4], v[8:9], off glc slc
	global_load_dwordx4 v[22:25], v[10:11], off glc slc
	buffer_load_dword v6, off, s[0:3], s33 offset:88 ; 4-byte Folded Reload
	v_sub_u32_e32 v39, v39, v49
	s_waitcnt vmcnt(1)
	v_mul_f32_e32 v3, v3, v24
	buffer_load_dword v24, off, s[0:3], s33 offset:88 ; 4-byte Folded Reload
	s_waitcnt vmcnt(1)
	v_add_co_u32_e64 v8, s[28:29], v8, v6
	buffer_load_dword v6, off, s[0:3], s33 offset:88 ; 4-byte Folded Reload
	v_addc_co_u32_e64 v9, s[28:29], 0, v9, s[28:29]
	v_mul_f32_e32 v1, v1, v22
	v_mul_f32_e32 v2, v2, v23
	;; [unrolled: 1-line block ×3, first 2 shown]
	global_store_dwordx4 v[44:45], v[1:4], off glc slc
	s_waitcnt vmcnt(1)
	v_add_co_u32_e64 v10, s[28:29], v10, v6
	buffer_load_dword v6, off, s[0:3], s33 offset:88 ; 4-byte Folded Reload
	v_addc_co_u32_e64 v11, s[28:29], 0, v11, s[28:29]
	s_waitcnt vmcnt(0)
	v_sub_u32_e32 v0, v0, v6
	v_cmp_gt_i32_e64 s[28:29], 16, v0
	s_or_b64 s[90:91], s[28:29], s[90:91]
	v_add_co_u32_e64 v44, s[28:29], v44, v24
	v_addc_co_u32_e64 v45, s[28:29], 0, v45, s[28:29]
	s_andn2_b64 exec, exec, s[90:91]
	s_cbranch_execnz .LBB6_619
; %bb.620:                              ;   in Loop: Header=BB6_498 Depth=2
	s_or_b64 exec, exec, s[90:91]
	buffer_load_dword v19, off, s[0:3], s33 offset:144 ; 4-byte Folded Reload
	buffer_load_dword v20, off, s[0:3], s33 offset:148 ; 4-byte Folded Reload
	;; [unrolled: 1-line block ×6, first 2 shown]
	v_mov_b32_e32 v23, v5
.LBB6_621:                              ;   in Loop: Header=BB6_498 Depth=2
	s_or_b64 exec, exec, s[42:43]
	v_and_b32_e32 v9, 12, v54
	v_cndmask_b32_e32 v54, v48, v9, vcc
	v_mov_b32_e32 v0, 0
	v_cmp_ne_u32_e64 s[28:29], 0, v54
	s_mov_b64 s[90:91], 0
                                        ; implicit-def: $vgpr34
                                        ; implicit-def: $vgpr8
	s_and_saveexec_b64 s[42:43], s[28:29]
	s_cbranch_execz .LBB6_623
; %bb.622:                              ;   in Loop: Header=BB6_498 Depth=2
	v_sub_u32_e32 v0, v48, v9
	v_cndmask_b32_e32 v0, 0, v0, vcc
	v_cmp_lt_i32_e32 vcc, 0, v39
	v_cndmask_b32_e32 v1, 0, v49, vcc
	v_sub_u32_e32 v1, v1, v39
	v_lshl_add_u32 v34, v1, 6, v35
	v_ashrrev_i32_e32 v1, 31, v34
	v_lshrrev_b32_e32 v1, 26, v1
	v_add_u32_e32 v1, v34, v1
	v_add3_u32 v0, v14, v38, v0
	v_ashrrev_i32_e32 v8, 6, v1
	s_mov_b64 s[90:91], exec
.LBB6_623:                              ;   in Loop: Header=BB6_498 Depth=2
	s_or_b64 exec, exec, s[42:43]
	buffer_load_dword v18, off, s[0:3], s33 offset:128 ; 4-byte Folded Reload
	buffer_load_dword v48, off, s[0:3], s33 offset:92 ; 4-byte Folded Reload
	s_and_b64 s[42:43], s[90:91], exec
.LBB6_624:                              ;   in Loop: Header=BB6_498 Depth=2
	s_or_b64 exec, exec, s[40:41]
	s_and_saveexec_b64 s[28:29], s[42:43]
	s_cbranch_execz .LBB6_633
.LBB6_625:                              ;   in Loop: Header=BB6_498 Depth=2
	v_ashrrev_i32_e32 v1, 31, v54
	v_lshrrev_b32_e32 v1, 21, v1
	v_add_u32_e32 v1, v54, v1
	v_ashrrev_i32_e32 v38, 11, v1
	s_waitcnt vmcnt(0)
	v_sub_u32_e32 v35, v38, v8
	v_cmp_lt_i32_e32 vcc, 0, v35
	s_and_saveexec_b64 s[40:41], vcc
	s_cbranch_execz .LBB6_629
; %bb.626:                              ;   in Loop: Header=BB6_498 Depth=2
	v_ashrrev_i32_e32 v1, 31, v34
	v_lshrrev_b32_e32 v1, 26, v1
	v_add_u32_e32 v1, v34, v1
	v_and_b32_e32 v1, 0x3fffffc0, v1
	v_sub_u32_e32 v1, v34, v1
	v_lshlrev_b32_e32 v1, 2, v1
	v_lshlrev_b32_e32 v2, 11, v8
	v_add3_u32 v3, v1, v0, v2
	s_trap 2
	ds_read_b64 v[1:2], v0
	v_ashrrev_i32_e32 v4, 31, v3
	v_add_co_u32_e32 v8, vcc, v3, v40
	v_addc_co_u32_e32 v9, vcc, v4, v41, vcc
	s_waitcnt lgkmcnt(0)
	v_add_co_u32_e32 v10, vcc, v1, v3
	v_addc_co_u32_e32 v11, vcc, v2, v4, vcc
	buffer_load_dword v1, off, s[0:3], s33 offset:212 ; 4-byte Folded Reload
	buffer_load_dword v2, off, s[0:3], s33 offset:216 ; 4-byte Folded Reload
	;; [unrolled: 1-line block ×3, first 2 shown]
	v_mov_b32_e32 v33, v18
	s_mov_b64 s[42:43], 0
	s_waitcnt vmcnt(2)
	v_add_co_u32_e32 v1, vcc, 0x700, v1
	s_waitcnt vmcnt(1)
	v_addc_co_u32_e32 v2, vcc, 0, v2, vcc
	v_add_co_u32_e32 v44, vcc, v1, v3
	v_addc_co_u32_e32 v45, vcc, v2, v4, vcc
.LBB6_627:                              ;   Parent Loop BB6_47 Depth=1
                                        ;     Parent Loop BB6_498 Depth=2
                                        ; =>    This Inner Loop Header: Depth=3
	flat_load_dword v1, v[8:9] glc slc
	flat_load_dword v2, v[8:9] offset:256 glc slc
	flat_load_dword v3, v[8:9] offset:512 glc slc
	;; [unrolled: 1-line block ×7, first 2 shown]
	flat_load_dword v15, v[10:11] glc slc
	flat_load_dword v16, v[10:11] offset:256 glc slc
	flat_load_dword v17, v[10:11] offset:512 glc slc
	;; [unrolled: 1-line block ×7, first 2 shown]
	v_sub_u32_e32 v35, v35, v49
	s_waitcnt vmcnt(0) lgkmcnt(0)
	v_mul_f32_e32 v15, v1, v15
	v_add_co_u32_e32 v1, vcc, s66, v44
	v_mul_f32_e32 v16, v2, v16
	v_addc_co_u32_e32 v2, vcc, -1, v45, vcc
	flat_store_dword v[1:2], v15 glc slc
	v_add_co_u32_e32 v1, vcc, s67, v44
	v_addc_co_u32_e32 v2, vcc, -1, v45, vcc
	flat_store_dword v[1:2], v16 glc slc
	v_add_co_u32_e32 v1, vcc, s85, v44
	v_mul_f32_e32 v3, v3, v17
	v_addc_co_u32_e32 v2, vcc, -1, v45, vcc
	flat_store_dword v[1:2], v3 glc slc
	v_add_co_u32_e32 v1, vcc, s54, v44
	v_mul_f32_e32 v4, v4, v18
	;; [unrolled: 4-line block ×4, first 2 shown]
	v_addc_co_u32_e32 v2, vcc, -1, v45, vcc
	flat_store_dword v[1:2], v6 glc slc
	v_add_co_u32_e32 v1, vcc, s55, v44
	v_addc_co_u32_e32 v2, vcc, -1, v45, vcc
	v_add_co_u32_e32 v8, vcc, v8, v25
	v_addc_co_u32_e32 v9, vcc, 0, v9, vcc
	v_add_co_u32_e32 v10, vcc, v10, v25
	v_mul_f32_e32 v7, v7, v21
	v_addc_co_u32_e32 v11, vcc, 0, v11, vcc
	v_mul_f32_e32 v14, v14, v22
	flat_store_dword v[1:2], v7 glc slc
	flat_store_dword v[44:45], v14 glc slc
	v_add_co_u32_e32 v44, vcc, v44, v25
	v_addc_co_u32_e32 v45, vcc, 0, v45, vcc
	v_cmp_gt_i32_e32 vcc, 1, v35
	s_or_b64 s[42:43], vcc, s[42:43]
	s_andn2_b64 exec, exec, s[42:43]
	s_cbranch_execnz .LBB6_627
; %bb.628:                              ;   in Loop: Header=BB6_498 Depth=2
	s_or_b64 exec, exec, s[42:43]
	buffer_load_dword v19, off, s[0:3], s33 offset:144 ; 4-byte Folded Reload
	buffer_load_dword v20, off, s[0:3], s33 offset:148 ; 4-byte Folded Reload
	;; [unrolled: 1-line block ×8, first 2 shown]
	v_mov_b32_e32 v18, v33
.LBB6_629:                              ;   in Loop: Header=BB6_498 Depth=2
	s_or_b64 exec, exec, s[40:41]
	v_lshlrev_b32_e32 v8, 11, v38
	v_cmp_ne_u32_e32 vcc, v54, v8
	s_and_b64 exec, exec, vcc
	s_cbranch_execz .LBB6_633
; %bb.630:                              ;   in Loop: Header=BB6_498 Depth=2
	v_ashrrev_i32_e32 v1, 31, v34
	v_lshrrev_b32_e32 v1, 26, v1
	v_add_u32_e32 v1, v34, v1
	v_and_b32_e32 v1, 0xffffffc0, v1
	v_sub_u32_e32 v1, v34, v1
	v_lshlrev_b32_e32 v2, 6, v35
	v_sub_u32_e32 v1, v1, v2
	v_ashrrev_i32_e32 v2, 31, v1
	v_lshrrev_b32_e32 v2, 26, v2
	v_add_u32_e32 v2, v1, v2
	v_and_b32_e32 v3, 0x3fffffc0, v2
	v_sub_u32_e32 v1, v1, v3
	v_lshlrev_b32_e32 v2, 2, v2
	v_and_b32_e32 v2, 0xffffff00, v2
	v_lshlrev_b32_e32 v1, 2, v1
	v_add3_u32 v8, v2, v1, v8
	v_sub_u32_e32 v14, v54, v8
	v_cmp_lt_i32_e32 vcc, 3, v14
	s_and_b64 exec, exec, vcc
	s_cbranch_execz .LBB6_633
; %bb.631:                              ;   in Loop: Header=BB6_498 Depth=2
	v_add_u32_e32 v2, v8, v0
	s_trap 2
	ds_read_b64 v[0:1], v0
	v_ashrrev_i32_e32 v3, 31, v2
	v_add_co_u32_e32 v8, vcc, v2, v40
	v_addc_co_u32_e32 v9, vcc, v3, v41, vcc
	s_waitcnt lgkmcnt(0)
	v_add_co_u32_e32 v10, vcc, v0, v2
	v_addc_co_u32_e32 v11, vcc, v1, v3, vcc
	buffer_load_dword v0, off, s[0:3], s33 offset:212 ; 4-byte Folded Reload
	buffer_load_dword v1, off, s[0:3], s33 offset:216 ; 4-byte Folded Reload
	s_mov_b64 s[40:41], 0
	s_waitcnt vmcnt(0)
	v_add_co_u32_e32 v40, vcc, v2, v0
	v_addc_co_u32_e32 v41, vcc, v3, v1, vcc
.LBB6_632:                              ;   Parent Loop BB6_47 Depth=1
                                        ;     Parent Loop BB6_498 Depth=2
                                        ; =>    This Inner Loop Header: Depth=3
	flat_load_dword v0, v[8:9] glc slc
	flat_load_dword v1, v[10:11] glc slc
	v_add_co_u32_e32 v8, vcc, v8, v16
	v_addc_co_u32_e32 v9, vcc, 0, v9, vcc
	v_add_co_u32_e32 v10, vcc, v10, v16
	v_addc_co_u32_e32 v11, vcc, 0, v11, vcc
	v_sub_u32_e32 v14, v14, v16
	v_cmp_gt_i32_e32 vcc, 4, v14
	s_or_b64 s[40:41], vcc, s[40:41]
	s_waitcnt vmcnt(0) lgkmcnt(0)
	v_mul_f32_e32 v0, v0, v1
	flat_store_dword v[40:41], v0 glc slc
	v_add_co_u32_e32 v40, vcc, v40, v16
	v_addc_co_u32_e32 v41, vcc, 0, v41, vcc
	s_andn2_b64 exec, exec, s[40:41]
	s_cbranch_execnz .LBB6_632
.LBB6_633:                              ;   in Loop: Header=BB6_498 Depth=2
	s_or_b64 exec, exec, s[28:29]
	v_cmp_lt_i32_e64 s[28:29], 0, v42
	s_and_saveexec_b64 s[40:41], s[10:11]
	s_cbranch_execz .LBB6_574
.LBB6_634:                              ;   in Loop: Header=BB6_498 Depth=2
	s_and_saveexec_b64 s[42:43], s[56:57]
	s_xor_b64 s[42:43], exec, s[42:43]
	s_cbranch_execz .LBB6_649
; %bb.635:                              ;   in Loop: Header=BB6_498 Depth=2
	s_and_saveexec_b64 s[90:91], s[16:17]
	s_cbranch_execz .LBB6_648
; %bb.636:                              ;   in Loop: Header=BB6_498 Depth=2
	s_mov_b64 s[94:95], exec
	v_mbcnt_lo_u32_b32 v0, s94, 0
	v_mbcnt_hi_u32_b32 v0, s95, v0
	v_cmp_eq_u32_e32 vcc, 0, v0
	s_waitcnt vmcnt(0) lgkmcnt(0)
	buffer_wbinvl1_vol
	s_and_saveexec_b64 s[92:93], vcc
	s_cbranch_execz .LBB6_638
; %bb.637:                              ;   in Loop: Header=BB6_498 Depth=2
	s_bcnt1_i32_b64 s94, s[94:95]
	v_mov_b32_e32 v0, s94
	v_mov_b32_e32 v1, v23
	ds_add_u64 v0, v[0:1]
	s_trap 2
.LBB6_638:                              ;   in Loop: Header=BB6_498 Depth=2
	s_or_b64 exec, exec, s[92:93]
	s_trap 2
	ds_read_b64 v[0:1], v0
	s_waitcnt lgkmcnt(0)
	v_add_co_u32_e32 v12, vcc, v12, v49
	v_addc_co_u32_e32 v13, vcc, 0, v13, vcc
	v_cmp_lt_u64_e32 vcc, v[0:1], v[12:13]
	s_and_saveexec_b64 s[92:93], vcc
	s_cbranch_execz .LBB6_647
; %bb.639:                              ;   in Loop: Header=BB6_498 Depth=2
	s_mov_b32 s48, 0
	s_mov_b64 s[94:95], 0
                                        ; implicit-def: $sgpr30_sgpr31
                                        ; implicit-def: $sgpr34_sgpr35
	s_branch .LBB6_641
.LBB6_640:                              ;   in Loop: Header=BB6_641 Depth=3
	s_or_b64 exec, exec, s[38:39]
	s_and_b64 vcc, exec, vcc
	s_or_b64 s[94:95], vcc, s[94:95]
	s_andn2_b64 vcc, s[30:31], exec
	s_and_b64 s[30:31], s[34:35], exec
	s_or_b64 s[30:31], vcc, s[30:31]
	s_andn2_b64 exec, exec, s[94:95]
	s_cbranch_execz .LBB6_645
.LBB6_641:                              ;   Parent Loop BB6_47 Depth=1
                                        ;     Parent Loop BB6_498 Depth=2
                                        ; =>    This Inner Loop Header: Depth=3
	s_add_i32 s48, s48, 1
	s_cmpk_lg_i32 s48, 0x2710
	s_cselect_b64 s[36:37], -1, 0
	s_and_b64 vcc, exec, s[36:37]
	s_cbranch_vccz .LBB6_643
; %bb.642:                              ;   in Loop: Header=BB6_641 Depth=3
	s_mov_b64 vcc, -1
	s_or_b64 s[34:35], s[34:35], exec
	s_and_saveexec_b64 s[38:39], s[36:37]
	s_cbranch_execz .LBB6_640
	s_branch .LBB6_644
.LBB6_643:                              ;   in Loop: Header=BB6_641 Depth=3
	s_trap 2
	ds_read_b64 v[0:1], v0
	s_andn2_b64 s[36:37], s[36:37], exec
	s_mov_b32 s48, 0
	s_waitcnt lgkmcnt(0)
	flat_load_dword v0, v[0:1] glc
	s_waitcnt vmcnt(0) lgkmcnt(0)
	buffer_wbinvl1_vol
	v_cmp_eq_u32_e32 vcc, 0, v0
	s_and_b64 vcc, vcc, exec
	s_or_b64 s[36:37], s[36:37], vcc
	s_mov_b64 vcc, -1
	s_or_b64 s[34:35], s[34:35], exec
	s_and_saveexec_b64 s[38:39], s[36:37]
	s_cbranch_execz .LBB6_640
.LBB6_644:                              ;   in Loop: Header=BB6_641 Depth=3
	s_sleep 1
	s_trap 2
	ds_read_b64 v[0:1], v0
	s_waitcnt lgkmcnt(0)
	s_andn2_b64 s[34:35], s[34:35], exec
	v_cmp_ge_u64_e32 vcc, v[0:1], v[12:13]
	s_orn2_b64 vcc, vcc, exec
	s_branch .LBB6_640
.LBB6_645:                              ;   in Loop: Header=BB6_498 Depth=2
	s_or_b64 exec, exec, s[94:95]
	s_and_saveexec_b64 s[94:95], s[30:31]
	s_xor_b64 s[94:95], exec, s[94:95]
	s_cbranch_execz .LBB6_647
; %bb.646:                              ;   in Loop: Header=BB6_498 Depth=2
	ds_write_b32 v0, v47
	s_trap 2
.LBB6_647:                              ;   in Loop: Header=BB6_498 Depth=2
	s_or_b64 exec, exec, s[92:93]
	;;#ASMSTART
	s_wakeup
	;;#ASMEND
.LBB6_648:                              ;   in Loop: Header=BB6_498 Depth=2
	s_or_b64 exec, exec, s[90:91]
.LBB6_649:                              ;   in Loop: Header=BB6_498 Depth=2
	s_andn2_saveexec_b64 s[42:43], s[42:43]
	s_cbranch_execz .LBB6_651
; %bb.650:                              ;   in Loop: Header=BB6_498 Depth=2
	s_waitcnt vmcnt(0) lgkmcnt(0)
	buffer_wbinvl1_vol
	s_barrier
.LBB6_651:                              ;   in Loop: Header=BB6_498 Depth=2
	s_or_b64 exec, exec, s[42:43]
	s_or_b64 exec, exec, s[40:41]
                                        ; implicit-def: $vgpr0
	s_and_saveexec_b64 s[40:41], s[24:25]
	s_xor_b64 s[40:41], exec, s[40:41]
	s_cbranch_execnz .LBB6_575
.LBB6_652:                              ;   in Loop: Header=BB6_498 Depth=2
	s_andn2_saveexec_b64 s[28:29], s[40:41]
	s_cbranch_execz .LBB6_671
.LBB6_653:                              ;   in Loop: Header=BB6_498 Depth=2
	s_and_saveexec_b64 s[40:41], s[56:57]
	s_xor_b64 s[40:41], exec, s[40:41]
	s_cbranch_execz .LBB6_668
; %bb.654:                              ;   in Loop: Header=BB6_498 Depth=2
	s_and_saveexec_b64 s[42:43], s[16:17]
	s_cbranch_execz .LBB6_667
; %bb.655:                              ;   in Loop: Header=BB6_498 Depth=2
	s_mov_b64 s[92:93], exec
	v_mbcnt_lo_u32_b32 v0, s92, 0
	v_mbcnt_hi_u32_b32 v0, s93, v0
	v_cmp_eq_u32_e32 vcc, 0, v0
	;;#ASMSTART
	s_waitcnt lgkmcnt(0) vmcnt(0)
	;;#ASMEND
	s_and_saveexec_b64 s[90:91], vcc
	s_cbranch_execz .LBB6_657
; %bb.656:                              ;   in Loop: Header=BB6_498 Depth=2
	s_bcnt1_i32_b64 s92, s[92:93]
	v_mov_b32_e32 v0, s92
	v_mov_b32_e32 v1, v23
	s_waitcnt lgkmcnt(0)
	ds_add_u64 v0, v[0:1]
	s_trap 2
.LBB6_657:                              ;   in Loop: Header=BB6_498 Depth=2
	s_or_b64 exec, exec, s[90:91]
	s_trap 2
	ds_read_b64 v[0:1], v0
	s_waitcnt vmcnt(0) lgkmcnt(0)
	v_add_co_u32_e32 v12, vcc, v12, v49
	v_addc_co_u32_e32 v13, vcc, 0, v13, vcc
	v_cmp_lt_u64_e32 vcc, v[0:1], v[12:13]
	s_and_saveexec_b64 s[90:91], vcc
	s_cbranch_execz .LBB6_666
; %bb.658:                              ;   in Loop: Header=BB6_498 Depth=2
	s_mov_b32 s38, 0
	s_mov_b64 s[92:93], 0
                                        ; implicit-def: $sgpr94_sgpr95
                                        ; implicit-def: $sgpr30_sgpr31
	s_branch .LBB6_660
.LBB6_659:                              ;   in Loop: Header=BB6_660 Depth=3
	s_or_b64 exec, exec, s[36:37]
	s_and_b64 vcc, exec, vcc
	s_or_b64 s[92:93], vcc, s[92:93]
	s_andn2_b64 s[94:95], s[94:95], exec
	s_and_b64 vcc, s[30:31], exec
	s_or_b64 s[94:95], s[94:95], vcc
	s_andn2_b64 exec, exec, s[92:93]
	s_cbranch_execz .LBB6_664
.LBB6_660:                              ;   Parent Loop BB6_47 Depth=1
                                        ;     Parent Loop BB6_498 Depth=2
                                        ; =>    This Inner Loop Header: Depth=3
	s_add_i32 s38, s38, 1
	s_cmpk_lg_i32 s38, 0x2710
	s_cselect_b64 s[34:35], -1, 0
	s_and_b64 vcc, exec, s[34:35]
	s_cbranch_vccz .LBB6_662
; %bb.661:                              ;   in Loop: Header=BB6_660 Depth=3
	s_mov_b64 vcc, -1
	s_or_b64 s[30:31], s[30:31], exec
	s_and_saveexec_b64 s[36:37], s[34:35]
	s_cbranch_execz .LBB6_659
	s_branch .LBB6_663
.LBB6_662:                              ;   in Loop: Header=BB6_660 Depth=3
	s_trap 2
	ds_read_b64 v[0:1], v0
	s_andn2_b64 s[34:35], s[34:35], exec
	s_mov_b32 s38, 0
	s_waitcnt lgkmcnt(0)
	flat_load_dword v0, v[0:1] glc
	s_waitcnt vmcnt(0) lgkmcnt(0)
	buffer_wbinvl1_vol
	v_cmp_eq_u32_e32 vcc, 0, v0
	s_and_b64 vcc, vcc, exec
	s_or_b64 s[34:35], s[34:35], vcc
	s_mov_b64 vcc, -1
	s_or_b64 s[30:31], s[30:31], exec
	s_and_saveexec_b64 s[36:37], s[34:35]
	s_cbranch_execz .LBB6_659
.LBB6_663:                              ;   in Loop: Header=BB6_660 Depth=3
	s_sleep 1
	s_trap 2
	ds_read_b64 v[0:1], v0
	s_waitcnt lgkmcnt(0)
	s_andn2_b64 s[30:31], s[30:31], exec
	v_cmp_ge_u64_e32 vcc, v[0:1], v[12:13]
	s_orn2_b64 vcc, vcc, exec
	s_branch .LBB6_659
.LBB6_664:                              ;   in Loop: Header=BB6_498 Depth=2
	s_or_b64 exec, exec, s[92:93]
	s_and_saveexec_b64 s[92:93], s[94:95]
	s_xor_b64 s[92:93], exec, s[92:93]
	s_cbranch_execz .LBB6_666
; %bb.665:                              ;   in Loop: Header=BB6_498 Depth=2
	ds_write_b32 v0, v47
	s_trap 2
.LBB6_666:                              ;   in Loop: Header=BB6_498 Depth=2
	s_or_b64 exec, exec, s[90:91]
	;;#ASMSTART
	s_wakeup
	;;#ASMEND
.LBB6_667:                              ;   in Loop: Header=BB6_498 Depth=2
	s_or_b64 exec, exec, s[42:43]
.LBB6_668:                              ;   in Loop: Header=BB6_498 Depth=2
	s_andn2_saveexec_b64 s[40:41], s[40:41]
	s_cbranch_execz .LBB6_670
; %bb.669:                              ;   in Loop: Header=BB6_498 Depth=2
	;;#ASMSTART
	s_waitcnt lgkmcnt(0) vmcnt(0)
	;;#ASMEND
	s_waitcnt vmcnt(0) lgkmcnt(0)
	s_barrier
.LBB6_670:                              ;   in Loop: Header=BB6_498 Depth=2
	s_or_b64 exec, exec, s[40:41]
	v_and_b32_e32 v0, 16, v62
.LBB6_671:                              ;   in Loop: Header=BB6_498 Depth=2
	s_or_b64 exec, exec, s[28:29]
	v_cmp_ne_u32_e32 vcc, 0, v0
	s_xor_b64 s[28:29], s[12:13], -1
	s_and_b64 s[40:41], vcc, s[28:29]
	s_and_saveexec_b64 s[28:29], s[40:41]
	s_cbranch_execz .LBB6_673
; %bb.672:                              ;   in Loop: Header=BB6_498 Depth=2
	flat_store_dword v[30:31], v47
.LBB6_673:                              ;   in Loop: Header=BB6_498 Depth=2
	s_or_b64 exec, exec, s[28:29]
	v_and_b32_e32 v0, 48, v62
	v_cmp_ne_u32_e32 vcc, 0, v0
	s_and_saveexec_b64 s[28:29], vcc
	s_cbranch_execz .LBB6_497
; %bb.674:                              ;   in Loop: Header=BB6_498 Depth=2
	v_add_co_u32_e32 v50, vcc, 2, v50
	v_addc_co_u32_e32 v51, vcc, 0, v51, vcc
	flat_store_dwordx2 v[60:61], v[50:51]
	s_branch .LBB6_497
.LBB6_675:                              ;   in Loop: Header=BB6_47 Depth=1
	s_or_b64 exec, exec, s[76:77]
	v_cmp_gt_i32_e32 vcc, 2, v0
	s_and_saveexec_b64 s[40:41], vcc
	s_cbranch_execz .LBB6_751
.LBB6_676:                              ;   in Loop: Header=BB6_47 Depth=1
	v_cmp_eq_u32_e64 s[76:77], 0, v0
	s_mov_b64 s[42:43], 0
	s_branch .LBB6_678
.LBB6_677:                              ;   in Loop: Header=BB6_678 Depth=2
	s_or_b64 exec, exec, s[28:29]
	v_add_u32_e32 v53, v55, v53
	s_mov_b64 s[76:77], 0
	s_andn2_b64 exec, exec, s[42:43]
	s_cbranch_execz .LBB6_752
.LBB6_678:                              ;   Parent Loop BB6_47 Depth=1
                                        ; =>  This Loop Header: Depth=2
                                        ;       Child Loop BB6_684 Depth 3
                                        ;       Child Loop BB6_712 Depth 3
                                        ;       Child Loop BB6_735 Depth 3
	v_sub_u32_e32 v0, v52, v53
	v_min_i32_e32 v55, v55, v0
	v_and_b32_e32 v0, 12, v62
	v_cmp_ne_u32_e32 vcc, 0, v0
	s_and_saveexec_b64 s[78:79], vcc
	s_cbranch_execz .LBB6_704
; %bb.679:                              ;   in Loop: Header=BB6_678 Depth=2
	v_and_b32_e32 v0, 8, v62
	s_waitcnt vmcnt(0) lgkmcnt(0)
	v_add_co_u32_e32 v1, vcc, v26, v0
	v_addc_co_u32_e32 v2, vcc, 0, v27, vcc
	v_add_co_u32_e32 v8, vcc, 2, v50
	v_addc_co_u32_e32 v9, vcc, 0, v51, vcc
	v_cmp_lt_u64_e32 vcc, v[1:2], v[8:9]
	s_and_saveexec_b64 s[88:89], vcc
	s_cbranch_execz .LBB6_691
; %bb.680:                              ;   in Loop: Header=BB6_678 Depth=2
	v_and_b32_e32 v1, 64, v62
	s_mov_b32 s75, 0
	v_cmp_eq_u32_e32 vcc, 0, v1
	s_mov_b64 s[90:91], 0
                                        ; implicit-def: $sgpr92_sgpr93
                                        ; implicit-def: $sgpr94_sgpr95
                                        ; implicit-def: $sgpr30_sgpr31
	s_branch .LBB6_684
.LBB6_681:                              ;   in Loop: Header=BB6_684 Depth=3
	s_waitcnt vmcnt(0) lgkmcnt(0)
	v_add_co_u32_e64 v1, s[28:29], v26, v0
	v_addc_co_u32_e64 v2, s[28:29], 0, v27, s[28:29]
	v_cmp_ge_u64_e64 s[28:29], v[1:2], v[8:9]
	s_or_b64 s[38:39], s[38:39], exec
	s_orn2_b64 s[36:37], s[28:29], exec
.LBB6_682:                              ;   in Loop: Header=BB6_684 Depth=3
	s_or_b64 exec, exec, s[50:51]
	s_andn2_b64 s[28:29], s[30:31], exec
	s_and_b64 s[30:31], s[38:39], exec
	s_or_b64 s[30:31], s[28:29], s[30:31]
	s_andn2_b64 s[28:29], s[94:95], exec
	s_and_b64 s[94:95], s[36:37], exec
	s_or_b64 s[94:95], s[28:29], s[94:95]
.LBB6_683:                              ;   in Loop: Header=BB6_684 Depth=3
	s_or_b64 exec, exec, s[34:35]
	s_and_b64 s[28:29], exec, s[94:95]
	s_or_b64 s[90:91], s[28:29], s[90:91]
	s_andn2_b64 s[28:29], s[92:93], exec
	s_and_b64 s[92:93], s[30:31], exec
	s_or_b64 s[92:93], s[28:29], s[92:93]
	s_andn2_b64 exec, exec, s[90:91]
	s_cbranch_execz .LBB6_688
.LBB6_684:                              ;   Parent Loop BB6_47 Depth=1
                                        ;     Parent Loop BB6_678 Depth=2
                                        ; =>    This Inner Loop Header: Depth=3
	s_sleep 1
	s_waitcnt vmcnt(0) lgkmcnt(0)
	flat_load_dwordx2 v[26:27], v[60:61] glc
	s_or_b64 s[30:31], s[30:31], exec
	s_or_b64 s[94:95], s[94:95], exec
                                        ; implicit-def: $vgpr10
	s_and_saveexec_b64 s[34:35], vcc
	s_cbranch_execz .LBB6_683
; %bb.685:                              ;   in Loop: Header=BB6_684 Depth=3
	s_cmpk_lt_i32 s75, 0x270f
	s_cselect_b64 s[48:49], -1, 0
	s_cmpk_gt_i32 s75, 0x270e
	s_mov_b64 s[36:37], -1
	s_cbranch_scc0 .LBB6_687
; %bb.686:                              ;   in Loop: Header=BB6_684 Depth=3
	s_trap 2
	ds_read_b64 v[1:2], v0
	s_andn2_b64 s[48:49], s[48:49], exec
	s_mov_b32 s75, 0
	s_mov_b64 s[38:39], 0
	s_waitcnt vmcnt(0) lgkmcnt(0)
	flat_load_dword v10, v[1:2] glc
	s_waitcnt vmcnt(0) lgkmcnt(0)
	buffer_wbinvl1_vol
	v_cmp_eq_u32_e64 s[28:29], 0, v10
	s_and_b64 s[28:29], s[28:29], exec
	s_or_b64 s[48:49], s[48:49], s[28:29]
	s_and_saveexec_b64 s[50:51], s[48:49]
	s_cbranch_execz .LBB6_682
	s_branch .LBB6_681
.LBB6_687:                              ;   in Loop: Header=BB6_684 Depth=3
	s_add_i32 s75, s75, 1
	s_mov_b64 s[38:39], -1
                                        ; implicit-def: $vgpr10
	s_and_saveexec_b64 s[50:51], s[48:49]
	s_cbranch_execz .LBB6_682
	s_branch .LBB6_681
.LBB6_688:                              ;   in Loop: Header=BB6_678 Depth=2
	s_or_b64 exec, exec, s[90:91]
	s_xor_b64 s[28:29], s[92:93], -1
	s_and_saveexec_b64 s[90:91], s[28:29]
	s_xor_b64 s[28:29], exec, s[90:91]
	s_cbranch_execz .LBB6_690
; %bb.689:                              ;   in Loop: Header=BB6_678 Depth=2
	v_or_b32_e32 v62, 64, v62
	s_waitcnt lgkmcnt(0)
	ds_write_b32 v0, v10
	s_trap 2
.LBB6_690:                              ;   in Loop: Header=BB6_678 Depth=2
	s_or_b64 exec, exec, s[28:29]
.LBB6_691:                              ;   in Loop: Header=BB6_678 Depth=2
	s_or_b64 exec, exec, s[88:89]
	v_and_b32_e32 v1, 0x108, v62
	v_cmp_ne_u32_e32 vcc, s65, v1
	;;#ASMSTART
	s_wakeup
	;;#ASMEND
                                        ; implicit-def: $vgpr10_vgpr11
	s_and_saveexec_b64 s[28:29], vcc
	s_xor_b64 s[28:29], exec, s[28:29]
; %bb.692:                              ;   in Loop: Header=BB6_678 Depth=2
	v_and_b32_e32 v10, 7, v50
	v_mov_b32_e32 v11, v23
                                        ; implicit-def: $vgpr50_vgpr51
; %bb.693:                              ;   in Loop: Header=BB6_678 Depth=2
	s_andn2_saveexec_b64 s[28:29], s[28:29]
	s_cbranch_execz .LBB6_695
; %bb.694:                              ;   in Loop: Header=BB6_678 Depth=2
	v_and_b32_e32 v10, 7, v50
	v_mad_u64_u32 v[1:2], s[88:89], v10, 24, v[19:20]
	v_ashrrev_i32_e32 v56, 31, v55
	v_lshlrev_b64 v[3:4], 2, v[55:56]
	v_mov_b32_e32 v11, v23
	flat_store_dwordx2 v[1:2], v[3:4] offset:8
.LBB6_695:                              ;   in Loop: Header=BB6_678 Depth=2
	s_or_b64 exec, exec, s[28:29]
	v_and_b32_e32 v1, 0x100, v62
	v_cmp_ne_u32_e32 vcc, 0, v1
	s_mov_b64 s[28:29], -1
                                        ; implicit-def: $vgpr36_vgpr37
	s_and_saveexec_b64 s[88:89], vcc
	s_cbranch_execz .LBB6_699
; %bb.696:                              ;   in Loop: Header=BB6_678 Depth=2
	v_mov_b32_e32 v3, v53
	v_mad_u64_u32 v[53:54], s[28:29], v10, 24, v[19:20]
                                        ; implicit-def: $vgpr36_vgpr37
	v_mov_b32_e32 v1, v54
	v_mad_u64_u32 v[1:2], s[28:29], v11, 24, v[1:2]
	v_mov_b32_e32 v54, v1
	flat_load_dword v1, v[53:54]
	s_waitcnt vmcnt(0) lgkmcnt(0)
	v_cmp_ne_u32_e32 vcc, 1, v1
	v_cmp_eq_u32_e64 s[28:29], 1, v1
	s_and_saveexec_b64 s[90:91], s[28:29]
	s_cbranch_execz .LBB6_698
; %bb.697:                              ;   in Loop: Header=BB6_678 Depth=2
	flat_load_dword v1, v[53:54] offset:4 glc
	s_waitcnt vmcnt(0) lgkmcnt(0)
	v_ashrrev_i32_e32 v2, 31, v1
	v_lshrrev_b64 v[36:37], 2, v[1:2]
.LBB6_698:                              ;   in Loop: Header=BB6_678 Depth=2
	s_or_b64 exec, exec, s[90:91]
	s_orn2_b64 s[28:29], vcc, exec
	v_mov_b32_e32 v53, v3
.LBB6_699:                              ;   in Loop: Header=BB6_678 Depth=2
	s_or_b64 exec, exec, s[88:89]
	s_and_saveexec_b64 s[88:89], s[28:29]
	s_cbranch_execz .LBB6_701
; %bb.700:                              ;   in Loop: Header=BB6_678 Depth=2
	v_mul_lo_u32 v1, v11, v58
	v_mul_lo_u32 v2, v10, v59
	v_mad_u64_u32 v[36:37], s[28:29], v10, v58, 0
	v_add3_u32 v37, v37, v2, v1
.LBB6_701:                              ;   in Loop: Header=BB6_678 Depth=2
	s_or_b64 exec, exec, s[88:89]
	v_cmp_eq_u32_e32 vcc, 0, v0
	v_mov_b32_e32 v0, 0x90
	v_mov_b32_e32 v1, 0xd0
	v_cndmask_b32_e32 v2, v1, v0, vcc
	v_lshlrev_b64 v[0:1], 2, v[36:37]
	v_add_co_u32_e32 v0, vcc, v28, v0
	v_addc_co_u32_e32 v1, vcc, v29, v1, vcc
	v_add_u32_e32 v2, v0, v2
	ds_write_b64 v2, v[0:1] offset:584
	v_and_b32_e32 v0, 0x2000, v62
	v_cmp_ne_u32_e32 vcc, 0, v0
	s_and_saveexec_b64 s[28:29], vcc
	s_cbranch_execz .LBB6_703
; %bb.702:                              ;   in Loop: Header=BB6_678 Depth=2
	ds_read_b64 v[0:1], v0 offset:872
	s_waitcnt lgkmcnt(0)
	v_add_co_u32_e32 v0, vcc, 1, v0
	v_addc_co_u32_e32 v1, vcc, 0, v1, vcc
	ds_write_b64 v0, v[0:1] offset:872
.LBB6_703:                              ;   in Loop: Header=BB6_678 Depth=2
	s_or_b64 exec, exec, s[28:29]
	v_mov_b32_e32 v51, v9
	v_mov_b32_e32 v50, v8
.LBB6_704:                              ;   in Loop: Header=BB6_678 Depth=2
	s_or_b64 exec, exec, s[78:79]
	s_xor_b64 s[28:29], s[76:77], -1
	s_and_b64 s[28:29], exec, s[28:29]
	s_or_b64 s[42:43], s[28:29], s[42:43]
	s_and_saveexec_b64 s[28:29], s[10:11]
	s_cbranch_execz .LBB6_723
; %bb.705:                              ;   in Loop: Header=BB6_678 Depth=2
	s_and_saveexec_b64 s[76:77], s[56:57]
	s_xor_b64 s[76:77], exec, s[76:77]
	s_cbranch_execz .LBB6_720
; %bb.706:                              ;   in Loop: Header=BB6_678 Depth=2
	s_and_saveexec_b64 s[78:79], s[16:17]
	s_cbranch_execz .LBB6_719
; %bb.707:                              ;   in Loop: Header=BB6_678 Depth=2
	s_mov_b64 s[90:91], exec
	v_mbcnt_lo_u32_b32 v0, s90, 0
	v_mbcnt_hi_u32_b32 v0, s91, v0
	v_cmp_eq_u32_e32 vcc, 0, v0
	s_waitcnt vmcnt(0) lgkmcnt(0)
	buffer_wbinvl1_vol
	s_and_saveexec_b64 s[88:89], vcc
	s_cbranch_execz .LBB6_709
; %bb.708:                              ;   in Loop: Header=BB6_678 Depth=2
	s_bcnt1_i32_b64 s75, s[90:91]
	v_mov_b32_e32 v0, s75
	v_mov_b32_e32 v1, v23
	ds_add_u64 v0, v[0:1]
	s_trap 2
.LBB6_709:                              ;   in Loop: Header=BB6_678 Depth=2
	s_or_b64 exec, exec, s[88:89]
	s_trap 2
	ds_read_b64 v[0:1], v0
	s_waitcnt lgkmcnt(0)
	v_add_co_u32_e32 v12, vcc, v12, v49
	v_addc_co_u32_e32 v13, vcc, 0, v13, vcc
	v_cmp_lt_u64_e32 vcc, v[0:1], v[12:13]
	s_and_saveexec_b64 s[88:89], vcc
	s_cbranch_execz .LBB6_718
; %bb.710:                              ;   in Loop: Header=BB6_678 Depth=2
	s_mov_b32 s75, 0
	s_mov_b64 s[90:91], 0
                                        ; implicit-def: $sgpr92_sgpr93
                                        ; implicit-def: $sgpr94_sgpr95
	s_branch .LBB6_712
.LBB6_711:                              ;   in Loop: Header=BB6_712 Depth=3
	s_or_b64 exec, exec, s[34:35]
	s_and_b64 vcc, exec, vcc
	s_or_b64 s[90:91], vcc, s[90:91]
	s_andn2_b64 s[92:93], s[92:93], exec
	s_and_b64 vcc, s[94:95], exec
	s_or_b64 s[92:93], s[92:93], vcc
	s_andn2_b64 exec, exec, s[90:91]
	s_cbranch_execz .LBB6_716
.LBB6_712:                              ;   Parent Loop BB6_47 Depth=1
                                        ;     Parent Loop BB6_678 Depth=2
                                        ; =>    This Inner Loop Header: Depth=3
	s_add_i32 s75, s75, 1
	s_cmpk_lg_i32 s75, 0x2710
	s_cselect_b64 s[30:31], -1, 0
	s_and_b64 vcc, exec, s[30:31]
	s_cbranch_vccz .LBB6_714
; %bb.713:                              ;   in Loop: Header=BB6_712 Depth=3
	s_mov_b64 vcc, -1
	s_or_b64 s[94:95], s[94:95], exec
	s_and_saveexec_b64 s[34:35], s[30:31]
	s_cbranch_execz .LBB6_711
	s_branch .LBB6_715
.LBB6_714:                              ;   in Loop: Header=BB6_712 Depth=3
	s_trap 2
	ds_read_b64 v[0:1], v0
	s_andn2_b64 s[30:31], s[30:31], exec
	s_mov_b32 s75, 0
	s_waitcnt lgkmcnt(0)
	flat_load_dword v0, v[0:1] glc
	s_waitcnt vmcnt(0) lgkmcnt(0)
	buffer_wbinvl1_vol
	v_cmp_eq_u32_e32 vcc, 0, v0
	s_and_b64 vcc, vcc, exec
	s_or_b64 s[30:31], s[30:31], vcc
	s_mov_b64 vcc, -1
	s_or_b64 s[94:95], s[94:95], exec
	s_and_saveexec_b64 s[34:35], s[30:31]
	s_cbranch_execz .LBB6_711
.LBB6_715:                              ;   in Loop: Header=BB6_712 Depth=3
	s_sleep 1
	s_trap 2
	ds_read_b64 v[0:1], v0
	s_waitcnt lgkmcnt(0)
	s_andn2_b64 s[94:95], s[94:95], exec
	v_cmp_ge_u64_e32 vcc, v[0:1], v[12:13]
	s_orn2_b64 vcc, vcc, exec
	s_branch .LBB6_711
.LBB6_716:                              ;   in Loop: Header=BB6_678 Depth=2
	s_or_b64 exec, exec, s[90:91]
	s_and_saveexec_b64 s[90:91], s[92:93]
	s_xor_b64 s[90:91], exec, s[90:91]
	s_cbranch_execz .LBB6_718
; %bb.717:                              ;   in Loop: Header=BB6_678 Depth=2
	ds_write_b32 v0, v47
	s_trap 2
.LBB6_718:                              ;   in Loop: Header=BB6_678 Depth=2
	s_or_b64 exec, exec, s[88:89]
	;;#ASMSTART
	s_wakeup
	;;#ASMEND
.LBB6_719:                              ;   in Loop: Header=BB6_678 Depth=2
	s_or_b64 exec, exec, s[78:79]
.LBB6_720:                              ;   in Loop: Header=BB6_678 Depth=2
	s_andn2_saveexec_b64 s[76:77], s[76:77]
	s_cbranch_execz .LBB6_722
; %bb.721:                              ;   in Loop: Header=BB6_678 Depth=2
	s_waitcnt vmcnt(0) lgkmcnt(0)
	buffer_wbinvl1_vol
	s_barrier
.LBB6_722:                              ;   in Loop: Header=BB6_678 Depth=2
	s_or_b64 exec, exec, s[76:77]
.LBB6_723:                              ;   in Loop: Header=BB6_678 Depth=2
	s_or_b64 exec, exec, s[28:29]
                                        ; implicit-def: $vgpr0
	s_and_saveexec_b64 s[28:29], s[24:25]
	s_xor_b64 s[28:29], exec, s[28:29]
	s_cbranch_execz .LBB6_727
; %bb.724:                              ;   in Loop: Header=BB6_678 Depth=2
	s_trap 2
	ds_read_b32 v0, v0
	v_cmp_lt_i32_e32 vcc, 0, v55
	v_and_b32_e32 v1, 16, v62
	s_waitcnt lgkmcnt(0)
	v_readfirstlane_b32 s75, v0
	s_cmp_eq_u32 s75, 0
	s_cselect_b64 s[76:77], -1, 0
	s_and_b64 s[76:77], vcc, s[76:77]
	v_cmp_ne_u32_e32 vcc, 0, v1
	v_and_b32_e32 v0, 16, v62
	s_and_b64 s[78:79], vcc, s[76:77]
	s_and_saveexec_b64 s[76:77], s[78:79]
	s_cbranch_execz .LBB6_726
; %bb.725:                              ;   in Loop: Header=BB6_678 Depth=2
	v_mov_b32_e32 v0, 1
	s_waitcnt vmcnt(0)
	buffer_wbinvl1_vol
.LBB6_726:                              ;   in Loop: Header=BB6_678 Depth=2
	s_or_b64 exec, exec, s[76:77]
	s_andn2_saveexec_b64 s[28:29], s[28:29]
	s_cbranch_execz .LBB6_746
	s_branch .LBB6_728
.LBB6_727:                              ;   in Loop: Header=BB6_678 Depth=2
	s_andn2_saveexec_b64 s[28:29], s[28:29]
	s_cbranch_execz .LBB6_746
.LBB6_728:                              ;   in Loop: Header=BB6_678 Depth=2
	s_and_saveexec_b64 s[76:77], s[56:57]
	s_xor_b64 s[76:77], exec, s[76:77]
	s_cbranch_execz .LBB6_743
; %bb.729:                              ;   in Loop: Header=BB6_678 Depth=2
	s_and_saveexec_b64 s[78:79], s[16:17]
	s_cbranch_execz .LBB6_742
; %bb.730:                              ;   in Loop: Header=BB6_678 Depth=2
	s_mov_b64 s[90:91], exec
	v_mbcnt_lo_u32_b32 v0, s90, 0
	v_mbcnt_hi_u32_b32 v0, s91, v0
	v_cmp_eq_u32_e32 vcc, 0, v0
	;;#ASMSTART
	s_waitcnt lgkmcnt(0) vmcnt(0)
	;;#ASMEND
	s_and_saveexec_b64 s[88:89], vcc
	s_cbranch_execz .LBB6_732
; %bb.731:                              ;   in Loop: Header=BB6_678 Depth=2
	s_bcnt1_i32_b64 s75, s[90:91]
	v_mov_b32_e32 v0, s75
	v_mov_b32_e32 v1, v23
	s_waitcnt lgkmcnt(0)
	ds_add_u64 v0, v[0:1]
	s_trap 2
.LBB6_732:                              ;   in Loop: Header=BB6_678 Depth=2
	s_or_b64 exec, exec, s[88:89]
	s_trap 2
	ds_read_b64 v[0:1], v0
	s_waitcnt vmcnt(0) lgkmcnt(0)
	v_add_co_u32_e32 v12, vcc, v12, v49
	v_addc_co_u32_e32 v13, vcc, 0, v13, vcc
	v_cmp_lt_u64_e32 vcc, v[0:1], v[12:13]
	s_and_saveexec_b64 s[88:89], vcc
	s_cbranch_execz .LBB6_741
; %bb.733:                              ;   in Loop: Header=BB6_678 Depth=2
	s_mov_b32 s75, 0
	s_mov_b64 s[90:91], 0
                                        ; implicit-def: $sgpr92_sgpr93
                                        ; implicit-def: $sgpr94_sgpr95
	s_branch .LBB6_735
.LBB6_734:                              ;   in Loop: Header=BB6_735 Depth=3
	s_or_b64 exec, exec, s[34:35]
	s_and_b64 vcc, exec, vcc
	s_or_b64 s[90:91], vcc, s[90:91]
	s_andn2_b64 s[92:93], s[92:93], exec
	s_and_b64 vcc, s[94:95], exec
	s_or_b64 s[92:93], s[92:93], vcc
	s_andn2_b64 exec, exec, s[90:91]
	s_cbranch_execz .LBB6_739
.LBB6_735:                              ;   Parent Loop BB6_47 Depth=1
                                        ;     Parent Loop BB6_678 Depth=2
                                        ; =>    This Inner Loop Header: Depth=3
	s_add_i32 s75, s75, 1
	s_cmpk_lg_i32 s75, 0x2710
	s_cselect_b64 s[30:31], -1, 0
	s_and_b64 vcc, exec, s[30:31]
	s_cbranch_vccz .LBB6_737
; %bb.736:                              ;   in Loop: Header=BB6_735 Depth=3
	s_mov_b64 vcc, -1
	s_or_b64 s[94:95], s[94:95], exec
	s_and_saveexec_b64 s[34:35], s[30:31]
	s_cbranch_execz .LBB6_734
	s_branch .LBB6_738
.LBB6_737:                              ;   in Loop: Header=BB6_735 Depth=3
	s_trap 2
	ds_read_b64 v[0:1], v0
	s_andn2_b64 s[30:31], s[30:31], exec
	s_mov_b32 s75, 0
	s_waitcnt lgkmcnt(0)
	flat_load_dword v0, v[0:1] glc
	s_waitcnt vmcnt(0) lgkmcnt(0)
	buffer_wbinvl1_vol
	v_cmp_eq_u32_e32 vcc, 0, v0
	s_and_b64 vcc, vcc, exec
	s_or_b64 s[30:31], s[30:31], vcc
	s_mov_b64 vcc, -1
	s_or_b64 s[94:95], s[94:95], exec
	s_and_saveexec_b64 s[34:35], s[30:31]
	s_cbranch_execz .LBB6_734
.LBB6_738:                              ;   in Loop: Header=BB6_735 Depth=3
	s_sleep 1
	s_trap 2
	ds_read_b64 v[0:1], v0
	s_waitcnt lgkmcnt(0)
	s_andn2_b64 s[94:95], s[94:95], exec
	v_cmp_ge_u64_e32 vcc, v[0:1], v[12:13]
	s_orn2_b64 vcc, vcc, exec
	s_branch .LBB6_734
.LBB6_739:                              ;   in Loop: Header=BB6_678 Depth=2
	s_or_b64 exec, exec, s[90:91]
	s_and_saveexec_b64 s[90:91], s[92:93]
	s_xor_b64 s[90:91], exec, s[90:91]
	s_cbranch_execz .LBB6_741
; %bb.740:                              ;   in Loop: Header=BB6_678 Depth=2
	ds_write_b32 v0, v47
	s_trap 2
.LBB6_741:                              ;   in Loop: Header=BB6_678 Depth=2
	s_or_b64 exec, exec, s[88:89]
	;;#ASMSTART
	s_wakeup
	;;#ASMEND
.LBB6_742:                              ;   in Loop: Header=BB6_678 Depth=2
	s_or_b64 exec, exec, s[78:79]
.LBB6_743:                              ;   in Loop: Header=BB6_678 Depth=2
	s_andn2_saveexec_b64 s[76:77], s[76:77]
	s_cbranch_execz .LBB6_745
; %bb.744:                              ;   in Loop: Header=BB6_678 Depth=2
	;;#ASMSTART
	s_waitcnt lgkmcnt(0) vmcnt(0)
	;;#ASMEND
	s_waitcnt vmcnt(0) lgkmcnt(0)
	s_barrier
.LBB6_745:                              ;   in Loop: Header=BB6_678 Depth=2
	s_or_b64 exec, exec, s[76:77]
	v_and_b32_e32 v0, 16, v62
.LBB6_746:                              ;   in Loop: Header=BB6_678 Depth=2
	s_or_b64 exec, exec, s[28:29]
	v_cmp_ne_u32_e32 vcc, 0, v0
	s_xor_b64 s[28:29], s[12:13], -1
	s_and_b64 s[76:77], vcc, s[28:29]
	s_and_saveexec_b64 s[28:29], s[76:77]
	s_cbranch_execz .LBB6_748
; %bb.747:                              ;   in Loop: Header=BB6_678 Depth=2
	flat_store_dword v[30:31], v47
.LBB6_748:                              ;   in Loop: Header=BB6_678 Depth=2
	s_or_b64 exec, exec, s[28:29]
	v_and_b32_e32 v0, 48, v62
	v_cmp_ne_u32_e32 vcc, 0, v0
	s_and_saveexec_b64 s[28:29], vcc
	s_cbranch_execz .LBB6_677
; %bb.749:                              ;   in Loop: Header=BB6_678 Depth=2
	v_add_co_u32_e32 v50, vcc, 2, v50
	v_addc_co_u32_e32 v51, vcc, 0, v51, vcc
	flat_store_dwordx2 v[60:61], v[50:51]
	s_branch .LBB6_677
.LBB6_750:                              ;   in Loop: Header=BB6_47 Depth=1
	s_or_b64 exec, exec, s[78:79]
	s_or_b64 exec, exec, s[76:77]
	v_cmp_gt_i32_e32 vcc, 2, v0
	s_and_saveexec_b64 s[40:41], vcc
	s_cbranch_execnz .LBB6_676
.LBB6_751:                              ;   in Loop: Header=BB6_47 Depth=1
	s_or_b64 exec, exec, s[40:41]
	s_and_b64 vcc, exec, s[26:27]
	s_cbranch_vccz .LBB6_753
	s_branch .LBB6_1015
.LBB6_752:                              ;   in Loop: Header=BB6_47 Depth=1
	s_or_b64 exec, exec, s[42:43]
	s_or_b64 exec, exec, s[40:41]
	s_and_b64 vcc, exec, s[26:27]
	s_cbranch_vccnz .LBB6_1015
.LBB6_753:                              ;   in Loop: Header=BB6_47 Depth=1
	v_mov_b32_e32 v55, v51
	v_mov_b32_e32 v54, v50
	s_mov_b32 s75, 1
.LBB6_754:                              ;   Parent Loop BB6_47 Depth=1
                                        ; =>  This Loop Header: Depth=2
                                        ;       Child Loop BB6_757 Depth 3
                                        ;         Child Loop BB6_765 Depth 4
                                        ;         Child Loop BB6_793 Depth 4
	;; [unrolled: 1-line block ×9, first 2 shown]
                                        ;           Child Loop BB6_848 Depth 5
                                        ;         Child Loop BB6_857 Depth 4
                                        ;         Child Loop BB6_862 Depth 4
                                        ;           Child Loop BB6_863 Depth 5
                                        ;         Child Loop BB6_901 Depth 4
                                        ;         Child Loop BB6_920 Depth 4
                                        ;       Child Loop BB6_938 Depth 3
                                        ;         Child Loop BB6_944 Depth 4
                                        ;         Child Loop BB6_972 Depth 4
	;; [unrolled: 1-line block ×3, first 2 shown]
	buffer_load_dword v2, off, s[0:3], s33 offset:192 ; 4-byte Folded Reload
	buffer_load_dword v3, off, s[0:3], s33 offset:196 ; 4-byte Folded Reload
	s_sub_i32 s26, s70, s75
	s_cmp_ge_i32 s26, s52
	s_cselect_b32 s27, s52, 0
	s_sub_i32 s26, s26, s27
	s_ashr_i32 s28, s26, 31
	v_mov_b32_e32 v52, 0
	s_waitcnt vmcnt(0)
	v_mul_lo_u32 v1, v2, s28
	v_mul_lo_u32 v0, v3, s26
	v_mad_u64_u32 v[8:9], s[26:27], v2, s26, 0
	v_add3_u32 v9, v9, v1, v0
	buffer_load_dword v0, off, s[0:3], s33 offset:184 ; 4-byte Folded Reload
	buffer_load_dword v1, off, s[0:3], s33 offset:188 ; 4-byte Folded Reload
	s_waitcnt vmcnt(0)
	v_sub_co_u32_e32 v0, vcc, v0, v8
	v_subb_co_u32_e32 v1, vcc, v1, v9, vcc
	v_cmp_lt_i64_e32 vcc, v[2:3], v[0:1]
	v_cndmask_b32_e32 v0, v0, v2, vcc
	v_max_i32_e32 v3, 0, v0
	v_add_u32_e32 v1, 31, v3
	v_lshrrev_b32_e32 v1, 1, v1
	v_and_b32_e32 v1, 0x3ffffff0, v1
	v_cmp_lt_i32_e32 vcc, 0, v0
	v_max_i32_e32 v50, s81, v1
	s_and_b64 s[26:27], s[72:73], vcc
	v_mov_b32_e32 v0, 0
	s_and_saveexec_b64 s[42:43], s[26:27]
	s_cbranch_execz .LBB6_935
; %bb.755:                              ;   in Loop: Header=BB6_754 Depth=2
	buffer_load_dword v0, off, s[0:3], s33 offset:112 ; 4-byte Folded Reload
	buffer_load_dword v1, off, s[0:3], s33 offset:116 ; 4-byte Folded Reload
	s_mov_b32 s50, 1
	s_mov_b64 s[78:79], -1
	v_mov_b32_e32 v52, 0
	s_mov_b64 s[76:77], 0
	s_waitcnt vmcnt(0)
	v_add_co_u32_e32 v0, vcc, v8, v0
	v_addc_co_u32_e32 v1, vcc, v9, v1, vcc
	v_lshlrev_b64 v[0:1], 2, v[0:1]
	buffer_store_dword v0, off, s[0:3], s33 offset:120 ; 4-byte Folded Spill
	s_nop 0
	buffer_store_dword v1, off, s[0:3], s33 offset:124 ; 4-byte Folded Spill
	s_branch .LBB6_757
.LBB6_756:                              ;   in Loop: Header=BB6_757 Depth=3
	s_or_b64 exec, exec, s[26:27]
	v_add_u32_e32 v52, v50, v52
	v_cmp_ge_i32_e32 vcc, v52, v3
	s_xor_b64 s[26:27], s[78:79], -1
	s_or_b64 s[26:27], s[26:27], vcc
	s_and_b64 s[26:27], exec, s[26:27]
	s_or_b64 s[76:77], s[26:27], s[76:77]
	s_mov_b64 s[78:79], 0
	v_mov_b32_e32 v0, s50
	s_mov_b32 s50, 2
	s_andn2_b64 exec, exec, s[76:77]
	s_cbranch_execz .LBB6_1010
.LBB6_757:                              ;   Parent Loop BB6_47 Depth=1
                                        ;     Parent Loop BB6_754 Depth=2
                                        ; =>    This Loop Header: Depth=3
                                        ;         Child Loop BB6_765 Depth 4
                                        ;         Child Loop BB6_793 Depth 4
	;; [unrolled: 1-line block ×9, first 2 shown]
                                        ;           Child Loop BB6_848 Depth 5
                                        ;         Child Loop BB6_857 Depth 4
                                        ;         Child Loop BB6_862 Depth 4
                                        ;           Child Loop BB6_863 Depth 5
                                        ;         Child Loop BB6_901 Depth 4
                                        ;         Child Loop BB6_920 Depth 4
	s_and_saveexec_b64 s[26:27], s[4:5]
	s_cbranch_execz .LBB6_759
; %bb.758:                              ;   in Loop: Header=BB6_757 Depth=3
	s_trap 2
	s_waitcnt vmcnt(0)
	ds_read_b128 v[4:7], v0
	buffer_load_dword v8, off, s[0:3], s33 offset:120 ; 4-byte Folded Reload
	buffer_load_dword v9, off, s[0:3], s33 offset:124 ; 4-byte Folded Reload
	v_ashrrev_i32_e32 v53, 31, v52
	v_lshlrev_b64 v[0:1], 2, v[52:53]
	s_waitcnt vmcnt(0) lgkmcnt(0)
	v_add_co_u32_e32 v2, vcc, v4, v8
	v_addc_co_u32_e32 v5, vcc, v5, v9, vcc
	v_add_co_u32_e32 v4, vcc, v2, v0
	v_addc_co_u32_e32 v5, vcc, v5, v1, vcc
	v_add_co_u32_e32 v2, vcc, v6, v8
	ds_write_b64 v0, v[4:5]
	v_addc_co_u32_e32 v4, vcc, v7, v9, vcc
	v_add_co_u32_e32 v0, vcc, v2, v0
	v_addc_co_u32_e32 v1, vcc, v4, v1, vcc
	v_cmp_ne_u64_e32 vcc, 0, v[6:7]
	v_cndmask_b32_e32 v1, 0, v1, vcc
	v_cndmask_b32_e32 v0, 0, v0, vcc
	ds_write_b64 v0, v[0:1]
.LBB6_759:                              ;   in Loop: Header=BB6_757 Depth=3
	s_or_b64 exec, exec, s[26:27]
	v_sub_u32_e32 v0, v3, v52
	v_min_i32_e32 v50, v50, v0
	v_and_b32_e32 v0, 12, v62
	v_cmp_ne_u32_e32 vcc, 0, v0
	s_and_saveexec_b64 s[28:29], vcc
	s_cbranch_execz .LBB6_785
; %bb.760:                              ;   in Loop: Header=BB6_757 Depth=3
	v_and_b32_e32 v0, 8, v62
	s_waitcnt vmcnt(0) lgkmcnt(0)
	v_add_co_u32_e32 v1, vcc, v26, v0
	v_addc_co_u32_e32 v2, vcc, 0, v27, vcc
	v_mov_b32_e32 v4, v54
	v_mov_b32_e32 v5, v55
	v_add_co_u32_e32 v8, vcc, 2, v4
	v_addc_co_u32_e32 v9, vcc, 0, v5, vcc
	v_cmp_lt_u64_e32 vcc, v[1:2], v[8:9]
	s_and_saveexec_b64 s[40:41], vcc
	s_cbranch_execz .LBB6_772
; %bb.761:                              ;   in Loop: Header=BB6_757 Depth=3
	v_and_b32_e32 v1, 64, v62
	s_mov_b32 s51, 0
	v_cmp_eq_u32_e32 vcc, 0, v1
	s_mov_b64 s[88:89], 0
                                        ; implicit-def: $sgpr90_sgpr91
                                        ; implicit-def: $sgpr92_sgpr93
                                        ; implicit-def: $sgpr94_sgpr95
	s_branch .LBB6_765
.LBB6_762:                              ;   in Loop: Header=BB6_765 Depth=4
	s_waitcnt vmcnt(0) lgkmcnt(0)
	v_add_co_u32_e64 v1, s[26:27], v26, v0
	v_addc_co_u32_e64 v2, s[26:27], 0, v27, s[26:27]
	v_cmp_ge_u64_e64 s[26:27], v[1:2], v[8:9]
	s_or_b64 s[36:37], s[36:37], exec
	s_orn2_b64 s[34:35], s[26:27], exec
.LBB6_763:                              ;   in Loop: Header=BB6_765 Depth=4
	s_or_b64 exec, exec, s[48:49]
	s_andn2_b64 s[26:27], s[94:95], exec
	s_and_b64 s[94:95], s[36:37], exec
	s_or_b64 s[94:95], s[26:27], s[94:95]
	s_andn2_b64 s[26:27], s[92:93], exec
	s_and_b64 s[92:93], s[34:35], exec
	s_or_b64 s[92:93], s[26:27], s[92:93]
.LBB6_764:                              ;   in Loop: Header=BB6_765 Depth=4
	s_or_b64 exec, exec, s[30:31]
	s_and_b64 s[26:27], exec, s[92:93]
	s_or_b64 s[88:89], s[26:27], s[88:89]
	s_andn2_b64 s[26:27], s[90:91], exec
	s_and_b64 s[90:91], s[94:95], exec
	s_or_b64 s[90:91], s[26:27], s[90:91]
	s_andn2_b64 exec, exec, s[88:89]
	s_cbranch_execz .LBB6_769
.LBB6_765:                              ;   Parent Loop BB6_47 Depth=1
                                        ;     Parent Loop BB6_754 Depth=2
                                        ;       Parent Loop BB6_757 Depth=3
                                        ; =>      This Inner Loop Header: Depth=4
	s_sleep 1
	s_waitcnt vmcnt(0) lgkmcnt(0)
	flat_load_dwordx2 v[26:27], v[60:61] glc
	s_or_b64 s[94:95], s[94:95], exec
	s_or_b64 s[92:93], s[92:93], exec
                                        ; implicit-def: $vgpr10
	s_and_saveexec_b64 s[30:31], vcc
	s_cbranch_execz .LBB6_764
; %bb.766:                              ;   in Loop: Header=BB6_765 Depth=4
	s_cmpk_lt_i32 s51, 0x270f
	s_cselect_b64 s[38:39], -1, 0
	s_cmpk_gt_i32 s51, 0x270e
	s_mov_b64 s[34:35], -1
	s_cbranch_scc0 .LBB6_768
; %bb.767:                              ;   in Loop: Header=BB6_765 Depth=4
	s_trap 2
	ds_read_b64 v[1:2], v0
	s_andn2_b64 s[38:39], s[38:39], exec
	s_mov_b32 s51, 0
	s_mov_b64 s[36:37], 0
	s_waitcnt vmcnt(0) lgkmcnt(0)
	flat_load_dword v10, v[1:2] glc
	s_waitcnt vmcnt(0) lgkmcnt(0)
	buffer_wbinvl1_vol
	v_cmp_eq_u32_e64 s[26:27], 0, v10
	s_and_b64 s[26:27], s[26:27], exec
	s_or_b64 s[38:39], s[38:39], s[26:27]
	s_and_saveexec_b64 s[48:49], s[38:39]
	s_cbranch_execz .LBB6_763
	s_branch .LBB6_762
.LBB6_768:                              ;   in Loop: Header=BB6_765 Depth=4
	s_add_i32 s51, s51, 1
	s_mov_b64 s[36:37], -1
                                        ; implicit-def: $vgpr10
	s_and_saveexec_b64 s[48:49], s[38:39]
	s_cbranch_execz .LBB6_763
	s_branch .LBB6_762
.LBB6_769:                              ;   in Loop: Header=BB6_757 Depth=3
	s_or_b64 exec, exec, s[88:89]
	s_xor_b64 s[26:27], s[90:91], -1
	s_and_saveexec_b64 s[88:89], s[26:27]
	s_xor_b64 s[26:27], exec, s[88:89]
	s_cbranch_execz .LBB6_771
; %bb.770:                              ;   in Loop: Header=BB6_757 Depth=3
	v_or_b32_e32 v62, 64, v62
	s_waitcnt lgkmcnt(0)
	ds_write_b32 v0, v10
	s_trap 2
.LBB6_771:                              ;   in Loop: Header=BB6_757 Depth=3
	s_or_b64 exec, exec, s[26:27]
.LBB6_772:                              ;   in Loop: Header=BB6_757 Depth=3
	s_or_b64 exec, exec, s[40:41]
	v_and_b32_e32 v1, 0x108, v62
	v_cmp_ne_u32_e32 vcc, s65, v1
	;;#ASMSTART
	s_wakeup
	;;#ASMEND
                                        ; implicit-def: $vgpr10_vgpr11
	s_and_saveexec_b64 s[26:27], vcc
	s_xor_b64 s[26:27], exec, s[26:27]
; %bb.773:                              ;   in Loop: Header=BB6_757 Depth=3
	v_and_b32_e32 v10, 7, v54
	v_mov_b32_e32 v11, v23
                                        ; implicit-def: $vgpr54_vgpr55
; %bb.774:                              ;   in Loop: Header=BB6_757 Depth=3
	s_andn2_saveexec_b64 s[26:27], s[26:27]
	s_cbranch_execz .LBB6_776
; %bb.775:                              ;   in Loop: Header=BB6_757 Depth=3
	v_and_b32_e32 v10, 7, v54
	v_mad_u64_u32 v[1:2], s[40:41], v10, 24, v[19:20]
	v_ashrrev_i32_e32 v51, 31, v50
	v_lshlrev_b64 v[4:5], 2, v[50:51]
	v_mov_b32_e32 v11, v23
	flat_store_dwordx2 v[1:2], v[4:5] offset:8
.LBB6_776:                              ;   in Loop: Header=BB6_757 Depth=3
	s_or_b64 exec, exec, s[26:27]
	v_and_b32_e32 v1, 0x100, v62
	v_cmp_ne_u32_e32 vcc, 0, v1
	s_mov_b64 s[26:27], -1
                                        ; implicit-def: $vgpr36_vgpr37
	s_and_saveexec_b64 s[40:41], vcc
	s_cbranch_execz .LBB6_780
; %bb.777:                              ;   in Loop: Header=BB6_757 Depth=3
	v_mad_u64_u32 v[40:41], s[26:27], v10, 24, v[19:20]
                                        ; implicit-def: $vgpr36_vgpr37
	v_mov_b32_e32 v1, v41
	v_mad_u64_u32 v[1:2], s[26:27], v11, 24, v[1:2]
	v_mov_b32_e32 v41, v1
	flat_load_dword v1, v[40:41]
	s_waitcnt vmcnt(0) lgkmcnt(0)
	v_cmp_ne_u32_e32 vcc, 1, v1
	v_cmp_eq_u32_e64 s[26:27], 1, v1
	s_and_saveexec_b64 s[88:89], s[26:27]
	s_cbranch_execz .LBB6_779
; %bb.778:                              ;   in Loop: Header=BB6_757 Depth=3
	flat_load_dword v1, v[40:41] offset:4 glc
	s_waitcnt vmcnt(0) lgkmcnt(0)
	v_ashrrev_i32_e32 v2, 31, v1
	v_lshrrev_b64 v[36:37], 2, v[1:2]
.LBB6_779:                              ;   in Loop: Header=BB6_757 Depth=3
	s_or_b64 exec, exec, s[88:89]
	s_orn2_b64 s[26:27], vcc, exec
.LBB6_780:                              ;   in Loop: Header=BB6_757 Depth=3
	s_or_b64 exec, exec, s[40:41]
	s_and_saveexec_b64 s[40:41], s[26:27]
	s_cbranch_execz .LBB6_782
; %bb.781:                              ;   in Loop: Header=BB6_757 Depth=3
	v_mul_lo_u32 v1, v11, v58
	v_mul_lo_u32 v2, v10, v59
	v_mad_u64_u32 v[36:37], s[26:27], v10, v58, 0
	v_add3_u32 v37, v37, v2, v1
.LBB6_782:                              ;   in Loop: Header=BB6_757 Depth=3
	s_or_b64 exec, exec, s[40:41]
	v_cmp_eq_u32_e32 vcc, 0, v0
	v_mov_b32_e32 v0, 0xd0
	v_mov_b32_e32 v1, 0x88
	v_cndmask_b32_e32 v2, v0, v1, vcc
	v_lshlrev_b64 v[0:1], 2, v[36:37]
	v_add_co_u32_e32 v0, vcc, v28, v0
	v_addc_co_u32_e32 v1, vcc, v29, v1, vcc
	v_add_u32_e32 v2, v0, v2
	ds_write_b64 v2, v[0:1] offset:584
	v_and_b32_e32 v0, 0x2000, v62
	v_cmp_ne_u32_e32 vcc, 0, v0
	s_and_saveexec_b64 s[26:27], vcc
	s_cbranch_execz .LBB6_784
; %bb.783:                              ;   in Loop: Header=BB6_757 Depth=3
	ds_read_b64 v[0:1], v0 offset:872
	s_waitcnt lgkmcnt(0)
	v_add_co_u32_e32 v0, vcc, 1, v0
	v_addc_co_u32_e32 v1, vcc, 0, v1, vcc
	ds_write_b64 v0, v[0:1] offset:872
.LBB6_784:                              ;   in Loop: Header=BB6_757 Depth=3
	s_or_b64 exec, exec, s[26:27]
	v_mov_b32_e32 v55, v9
	v_mov_b32_e32 v54, v8
.LBB6_785:                              ;   in Loop: Header=BB6_757 Depth=3
	s_or_b64 exec, exec, s[28:29]
	s_and_saveexec_b64 s[26:27], s[10:11]
	s_cbranch_execz .LBB6_804
; %bb.786:                              ;   in Loop: Header=BB6_757 Depth=3
	s_and_saveexec_b64 s[28:29], s[56:57]
	s_xor_b64 s[28:29], exec, s[28:29]
	s_cbranch_execz .LBB6_801
; %bb.787:                              ;   in Loop: Header=BB6_757 Depth=3
	s_and_saveexec_b64 s[40:41], s[16:17]
	s_cbranch_execz .LBB6_800
; %bb.788:                              ;   in Loop: Header=BB6_757 Depth=3
	s_mov_b64 s[90:91], exec
	v_mbcnt_lo_u32_b32 v0, s90, 0
	v_mbcnt_hi_u32_b32 v0, s91, v0
	v_cmp_eq_u32_e32 vcc, 0, v0
	s_waitcnt vmcnt(0) lgkmcnt(0)
	buffer_wbinvl1_vol
	s_and_saveexec_b64 s[88:89], vcc
	s_cbranch_execz .LBB6_790
; %bb.789:                              ;   in Loop: Header=BB6_757 Depth=3
	s_bcnt1_i32_b64 s90, s[90:91]
	v_mov_b32_e32 v0, s90
	v_mov_b32_e32 v1, v23
	ds_add_u64 v0, v[0:1]
	s_trap 2
.LBB6_790:                              ;   in Loop: Header=BB6_757 Depth=3
	s_or_b64 exec, exec, s[88:89]
	s_trap 2
	ds_read_b64 v[0:1], v0
	s_waitcnt lgkmcnt(0)
	v_add_co_u32_e32 v12, vcc, v12, v49
	v_addc_co_u32_e32 v13, vcc, 0, v13, vcc
	v_cmp_lt_u64_e32 vcc, v[0:1], v[12:13]
	s_and_saveexec_b64 s[88:89], vcc
	s_cbranch_execz .LBB6_799
; %bb.791:                              ;   in Loop: Header=BB6_757 Depth=3
	s_mov_b32 s36, 0
	s_mov_b64 s[90:91], 0
                                        ; implicit-def: $sgpr92_sgpr93
                                        ; implicit-def: $sgpr94_sgpr95
	s_branch .LBB6_793
.LBB6_792:                              ;   in Loop: Header=BB6_793 Depth=4
	s_or_b64 exec, exec, s[34:35]
	s_and_b64 vcc, exec, vcc
	s_or_b64 s[90:91], vcc, s[90:91]
	s_andn2_b64 s[92:93], s[92:93], exec
	s_and_b64 vcc, s[94:95], exec
	s_or_b64 s[92:93], s[92:93], vcc
	s_andn2_b64 exec, exec, s[90:91]
	s_cbranch_execz .LBB6_797
.LBB6_793:                              ;   Parent Loop BB6_47 Depth=1
                                        ;     Parent Loop BB6_754 Depth=2
                                        ;       Parent Loop BB6_757 Depth=3
                                        ; =>      This Inner Loop Header: Depth=4
	s_add_i32 s36, s36, 1
	s_cmpk_lg_i32 s36, 0x2710
	s_cselect_b64 s[30:31], -1, 0
	s_and_b64 vcc, exec, s[30:31]
	s_cbranch_vccz .LBB6_795
; %bb.794:                              ;   in Loop: Header=BB6_793 Depth=4
	s_mov_b64 vcc, -1
	s_or_b64 s[94:95], s[94:95], exec
	s_and_saveexec_b64 s[34:35], s[30:31]
	s_cbranch_execz .LBB6_792
	s_branch .LBB6_796
.LBB6_795:                              ;   in Loop: Header=BB6_793 Depth=4
	s_trap 2
	ds_read_b64 v[0:1], v0
	s_andn2_b64 s[30:31], s[30:31], exec
	s_mov_b32 s36, 0
	s_waitcnt lgkmcnt(0)
	flat_load_dword v0, v[0:1] glc
	s_waitcnt vmcnt(0) lgkmcnt(0)
	buffer_wbinvl1_vol
	v_cmp_eq_u32_e32 vcc, 0, v0
	s_and_b64 vcc, vcc, exec
	s_or_b64 s[30:31], s[30:31], vcc
	s_mov_b64 vcc, -1
	s_or_b64 s[94:95], s[94:95], exec
	s_and_saveexec_b64 s[34:35], s[30:31]
	s_cbranch_execz .LBB6_792
.LBB6_796:                              ;   in Loop: Header=BB6_793 Depth=4
	s_sleep 1
	s_trap 2
	ds_read_b64 v[0:1], v0
	s_waitcnt lgkmcnt(0)
	s_andn2_b64 s[94:95], s[94:95], exec
	v_cmp_ge_u64_e32 vcc, v[0:1], v[12:13]
	s_orn2_b64 vcc, vcc, exec
	s_branch .LBB6_792
.LBB6_797:                              ;   in Loop: Header=BB6_757 Depth=3
	s_or_b64 exec, exec, s[90:91]
	s_and_saveexec_b64 s[90:91], s[92:93]
	s_xor_b64 s[90:91], exec, s[90:91]
	s_cbranch_execz .LBB6_799
; %bb.798:                              ;   in Loop: Header=BB6_757 Depth=3
	ds_write_b32 v0, v47
	s_trap 2
.LBB6_799:                              ;   in Loop: Header=BB6_757 Depth=3
	s_or_b64 exec, exec, s[88:89]
	;;#ASMSTART
	s_wakeup
	;;#ASMEND
.LBB6_800:                              ;   in Loop: Header=BB6_757 Depth=3
	s_or_b64 exec, exec, s[40:41]
.LBB6_801:                              ;   in Loop: Header=BB6_757 Depth=3
	s_andn2_saveexec_b64 s[28:29], s[28:29]
	s_cbranch_execz .LBB6_803
; %bb.802:                              ;   in Loop: Header=BB6_757 Depth=3
	s_waitcnt vmcnt(0) lgkmcnt(0)
	buffer_wbinvl1_vol
	s_barrier
.LBB6_803:                              ;   in Loop: Header=BB6_757 Depth=3
	s_or_b64 exec, exec, s[28:29]
.LBB6_804:                              ;   in Loop: Header=BB6_757 Depth=3
	s_or_b64 exec, exec, s[26:27]
	s_trap 2
	ds_read_b32 v0, v0
	v_and_b32_e32 v1, 0x4000, v62
	v_cmp_ne_u32_e32 vcc, 0, v1
	s_xor_b64 s[26:27], s[6:7], -1
	s_and_b64 s[28:29], s[26:27], vcc
	s_and_saveexec_b64 s[26:27], s[28:29]
	s_cbranch_execz .LBB6_823
; %bb.805:                              ;   in Loop: Header=BB6_757 Depth=3
	s_and_saveexec_b64 s[28:29], s[56:57]
	s_xor_b64 s[28:29], exec, s[28:29]
	s_cbranch_execz .LBB6_820
; %bb.806:                              ;   in Loop: Header=BB6_757 Depth=3
	s_and_saveexec_b64 s[40:41], s[16:17]
	s_cbranch_execz .LBB6_819
; %bb.807:                              ;   in Loop: Header=BB6_757 Depth=3
	s_mov_b64 s[90:91], exec
	v_mbcnt_lo_u32_b32 v1, s90, 0
	v_mbcnt_hi_u32_b32 v1, s91, v1
	v_cmp_eq_u32_e32 vcc, 0, v1
	s_waitcnt vmcnt(0) lgkmcnt(0)
	buffer_wbinvl1_vol
	s_and_saveexec_b64 s[88:89], vcc
	s_cbranch_execz .LBB6_809
; %bb.808:                              ;   in Loop: Header=BB6_757 Depth=3
	s_bcnt1_i32_b64 s90, s[90:91]
	v_mov_b32_e32 v1, s90
	v_mov_b32_e32 v2, v23
	ds_add_u64 v0, v[1:2]
	s_trap 2
.LBB6_809:                              ;   in Loop: Header=BB6_757 Depth=3
	s_or_b64 exec, exec, s[88:89]
	s_trap 2
	ds_read_b64 v[1:2], v0
	s_waitcnt lgkmcnt(0)
	v_add_co_u32_e32 v12, vcc, v12, v49
	v_addc_co_u32_e32 v13, vcc, 0, v13, vcc
	v_cmp_lt_u64_e32 vcc, v[1:2], v[12:13]
	s_and_saveexec_b64 s[88:89], vcc
	s_cbranch_execz .LBB6_818
; %bb.810:                              ;   in Loop: Header=BB6_757 Depth=3
	s_mov_b32 s36, 0
	s_mov_b64 s[90:91], 0
                                        ; implicit-def: $sgpr92_sgpr93
                                        ; implicit-def: $sgpr94_sgpr95
	s_branch .LBB6_812
.LBB6_811:                              ;   in Loop: Header=BB6_812 Depth=4
	s_or_b64 exec, exec, s[34:35]
	s_and_b64 vcc, exec, vcc
	s_or_b64 s[90:91], vcc, s[90:91]
	s_andn2_b64 s[92:93], s[92:93], exec
	s_and_b64 vcc, s[94:95], exec
	s_or_b64 s[92:93], s[92:93], vcc
	s_andn2_b64 exec, exec, s[90:91]
	s_cbranch_execz .LBB6_816
.LBB6_812:                              ;   Parent Loop BB6_47 Depth=1
                                        ;     Parent Loop BB6_754 Depth=2
                                        ;       Parent Loop BB6_757 Depth=3
                                        ; =>      This Inner Loop Header: Depth=4
	s_add_i32 s36, s36, 1
	s_cmpk_lg_i32 s36, 0x2710
	s_cselect_b64 s[30:31], -1, 0
	s_and_b64 vcc, exec, s[30:31]
	s_cbranch_vccz .LBB6_814
; %bb.813:                              ;   in Loop: Header=BB6_812 Depth=4
	s_mov_b64 vcc, -1
	s_or_b64 s[94:95], s[94:95], exec
	s_and_saveexec_b64 s[34:35], s[30:31]
	s_cbranch_execz .LBB6_811
	s_branch .LBB6_815
.LBB6_814:                              ;   in Loop: Header=BB6_812 Depth=4
	s_trap 2
	ds_read_b64 v[1:2], v0
	s_andn2_b64 s[30:31], s[30:31], exec
	s_mov_b32 s36, 0
	s_waitcnt lgkmcnt(0)
	flat_load_dword v1, v[1:2] glc
	s_waitcnt vmcnt(0) lgkmcnt(0)
	buffer_wbinvl1_vol
	v_cmp_eq_u32_e32 vcc, 0, v1
	s_and_b64 vcc, vcc, exec
	s_or_b64 s[30:31], s[30:31], vcc
	s_mov_b64 vcc, -1
	s_or_b64 s[94:95], s[94:95], exec
	s_and_saveexec_b64 s[34:35], s[30:31]
	s_cbranch_execz .LBB6_811
.LBB6_815:                              ;   in Loop: Header=BB6_812 Depth=4
	s_sleep 1
	s_trap 2
	ds_read_b64 v[1:2], v0
	s_waitcnt lgkmcnt(0)
	s_andn2_b64 s[94:95], s[94:95], exec
	v_cmp_ge_u64_e32 vcc, v[1:2], v[12:13]
	s_orn2_b64 vcc, vcc, exec
	s_branch .LBB6_811
.LBB6_816:                              ;   in Loop: Header=BB6_757 Depth=3
	s_or_b64 exec, exec, s[90:91]
	s_and_saveexec_b64 s[90:91], s[92:93]
	s_xor_b64 s[90:91], exec, s[90:91]
	s_cbranch_execz .LBB6_818
; %bb.817:                              ;   in Loop: Header=BB6_757 Depth=3
	ds_write_b32 v0, v47
	s_trap 2
.LBB6_818:                              ;   in Loop: Header=BB6_757 Depth=3
	s_or_b64 exec, exec, s[88:89]
	;;#ASMSTART
	s_wakeup
	;;#ASMEND
.LBB6_819:                              ;   in Loop: Header=BB6_757 Depth=3
	s_or_b64 exec, exec, s[40:41]
.LBB6_820:                              ;   in Loop: Header=BB6_757 Depth=3
	s_andn2_saveexec_b64 s[28:29], s[28:29]
	s_cbranch_execz .LBB6_822
; %bb.821:                              ;   in Loop: Header=BB6_757 Depth=3
	s_waitcnt vmcnt(0) lgkmcnt(0)
	buffer_wbinvl1_vol
	s_barrier
.LBB6_822:                              ;   in Loop: Header=BB6_757 Depth=3
	s_or_b64 exec, exec, s[28:29]
.LBB6_823:                              ;   in Loop: Header=BB6_757 Depth=3
	s_or_b64 exec, exec, s[26:27]
	s_trap 2
	s_waitcnt lgkmcnt(0)
	ds_read_b64 v[40:41], v0
	s_waitcnt lgkmcnt(0)
	v_cmp_eq_u64_e32 vcc, 0, v[40:41]
	s_cbranch_vccnz .LBB6_832
; %bb.824:                              ;   in Loop: Header=BB6_757 Depth=3
	s_trap 2
	s_waitcnt vmcnt(0)
	ds_read_b64 v[42:43], v0
	s_waitcnt lgkmcnt(0)
	v_cmp_eq_u64_e32 vcc, 0, v[42:43]
	s_cbranch_vccnz .LBB6_837
; %bb.825:                              ;   in Loop: Header=BB6_757 Depth=3
	s_trap 2
	ds_read_b64 v[44:45], v0
	v_cmp_eq_u32_e32 vcc, 0, v0
	v_cndmask_b32_e32 v33, 0, v50, vcc
	v_lshlrev_b32_e32 v53, 2, v33
	s_waitcnt lgkmcnt(0)
	v_cmp_ne_u64_e32 vcc, 0, v[44:45]
	s_cbranch_vccz .LBB6_838
; %bb.826:                              ;   in Loop: Header=BB6_757 Depth=3
	s_mov_b64 s[28:29], -1
	s_and_saveexec_b64 s[26:27], s[20:21]
	s_cbranch_execz .LBB6_828
; %bb.827:                              ;   in Loop: Header=BB6_757 Depth=3
	ds_read_b32 v0, v0 offset:720
	s_waitcnt lgkmcnt(0)
	v_and_b32_e32 v0, 15, v0
	v_cmp_eq_u32_e32 vcc, 0, v0
	s_orn2_b64 s[28:29], vcc, exec
.LBB6_828:                              ;   in Loop: Header=BB6_757 Depth=3
	s_or_b64 exec, exec, s[26:27]
	s_and_saveexec_b64 s[26:27], s[22:23]
	s_cbranch_execz .LBB6_830
; %bb.829:                              ;   in Loop: Header=BB6_757 Depth=3
	ds_read_b32 v0, v0 offset:784
	s_waitcnt lgkmcnt(0)
	v_and_b32_e32 v0, 15, v0
	v_cmp_eq_u32_e32 vcc, 0, v0
	s_and_b64 s[40:41], s[28:29], vcc
	s_andn2_b64 s[28:29], s[28:29], exec
	s_and_b64 s[40:41], s[40:41], exec
	s_or_b64 s[28:29], s[28:29], s[40:41]
.LBB6_830:                              ;   in Loop: Header=BB6_757 Depth=3
	s_or_b64 exec, exec, s[26:27]
	buffer_load_dword v8, off, s[0:3], s33 offset:80 ; 4-byte Folded Reload
	s_xor_b64 s[28:29], s[28:29], -1
	v_cndmask_b32_e64 v0, 0, 1, s[28:29]
	s_mov_b64 s[26:27], -1
	v_mov_b32_e32 v56, 0
	v_cmp_ne_u32_e32 vcc, 0, v0
	v_mov_b32_e32 v57, v53
	v_mov_b32_e32 v0, v32
	s_cbranch_vccz .LBB6_840
; %bb.831:                              ;   in Loop: Header=BB6_757 Depth=3
	s_and_saveexec_b64 s[40:41], s[26:27]
	s_cbranch_execnz .LBB6_855
	s_branch .LBB6_865
.LBB6_832:                              ;   in Loop: Header=BB6_757 Depth=3
	s_mov_b64 s[26:27], 0
	s_and_saveexec_b64 s[28:29], s[10:11]
	s_cbranch_execnz .LBB6_894
.LBB6_833:                              ;   in Loop: Header=BB6_757 Depth=3
	s_or_b64 exec, exec, s[28:29]
                                        ; implicit-def: $vgpr0
	s_and_saveexec_b64 s[28:29], s[24:25]
	s_xor_b64 s[28:29], exec, s[28:29]
	s_cbranch_execz .LBB6_912
.LBB6_834:                              ;   in Loop: Header=BB6_757 Depth=3
	v_and_b32_e32 v1, 16, v62
	v_cmp_ne_u32_e32 vcc, 0, v1
	v_and_b32_e32 v0, 16, v62
	s_and_b64 s[40:41], vcc, s[26:27]
	s_and_saveexec_b64 s[26:27], s[40:41]
	s_cbranch_execz .LBB6_836
; %bb.835:                              ;   in Loop: Header=BB6_757 Depth=3
	v_mov_b32_e32 v0, 1
	s_waitcnt vmcnt(0) lgkmcnt(0)
	buffer_wbinvl1_vol
.LBB6_836:                              ;   in Loop: Header=BB6_757 Depth=3
	s_or_b64 exec, exec, s[26:27]
	s_andn2_saveexec_b64 s[26:27], s[28:29]
	s_cbranch_execz .LBB6_931
	s_branch .LBB6_913
.LBB6_837:                              ;   in Loop: Header=BB6_757 Depth=3
	s_mov_b64 s[26:27], 0
	buffer_load_dword v43, off, s[0:3], s33 offset:60 ; 4-byte Folded Reload
	s_and_saveexec_b64 s[28:29], s[10:11]
	s_cbranch_execnz .LBB6_894
	s_branch .LBB6_833
.LBB6_838:                              ;   in Loop: Header=BB6_757 Depth=3
	buffer_load_dword v25, off, s[0:3], s33 offset:104 ; 4-byte Folded Reload
	buffer_load_dword v45, off, s[0:3], s33 offset:108 ; 4-byte Folded Reload
	s_cbranch_execnz .LBB6_866
.LBB6_839:                              ;   in Loop: Header=BB6_757 Depth=3
	v_cmp_lt_i32_e64 s[26:27], 0, v33
	buffer_load_dword v43, off, s[0:3], s33 offset:60 ; 4-byte Folded Reload
	s_and_saveexec_b64 s[28:29], s[10:11]
	s_cbranch_execnz .LBB6_894
	s_branch .LBB6_833
.LBB6_840:                              ;   in Loop: Header=BB6_757 Depth=3
	buffer_load_dword v1, off, s[0:3], s33 offset:80 ; 4-byte Folded Reload
	v_ashrrev_i32_e32 v0, 31, v53
	v_lshrrev_b32_e32 v0, 20, v0
	v_add_u32_e32 v0, v53, v0
	v_ashrrev_i32_e32 v0, 12, v0
	s_waitcnt vmcnt(0)
	v_sub_u32_e32 v14, v0, v1
	v_cmp_lt_i32_e32 vcc, 0, v14
	s_and_saveexec_b64 s[26:27], vcc
	s_cbranch_execz .LBB6_844
; %bb.841:                              ;   in Loop: Header=BB6_757 Depth=3
	buffer_load_dword v2, off, s[0:3], s33 offset:104 ; 4-byte Folded Reload
	buffer_load_dword v4, off, s[0:3], s33 offset:108 ; 4-byte Folded Reload
	v_mov_b32_e32 v1, v46
	v_mov_b32_e32 v25, v18
	s_mov_b64 s[28:29], 0
	s_waitcnt vmcnt(1)
	v_add_co_u32_e32 v8, vcc, v40, v2
	s_waitcnt vmcnt(0)
	v_addc_co_u32_e32 v9, vcc, v41, v4, vcc
	v_add_co_u32_e32 v10, vcc, v42, v2
	v_addc_co_u32_e32 v11, vcc, v43, v4, vcc
	v_add_co_u32_e32 v46, vcc, v44, v2
	v_addc_co_u32_e32 v47, vcc, v45, v4, vcc
.LBB6_842:                              ;   Parent Loop BB6_47 Depth=1
                                        ;     Parent Loop BB6_754 Depth=2
                                        ;       Parent Loop BB6_757 Depth=3
                                        ; =>      This Inner Loop Header: Depth=4
	global_load_dwordx4 v[4:7], v[8:9], off glc slc
	global_load_dwordx4 v[15:18], v[8:9], off offset:1024 glc slc
	global_load_dwordx4 v[19:22], v[8:9], off offset:2048 glc slc
	global_load_dwordx4 v[28:31], v[8:9], off offset:3072 glc slc
	v_add_co_u32_e32 v8, vcc, v8, v1
	v_addc_co_u32_e32 v9, vcc, 0, v9, vcc
	v_sub_u32_e32 v14, v14, v49
	v_cmp_gt_i32_e32 vcc, 1, v14
	s_or_b64 s[28:29], vcc, s[28:29]
	s_waitcnt vmcnt(3)
	global_store_dwordx4 v[10:11], v[4:7], off glc slc
	s_waitcnt vmcnt(3)
	global_store_dwordx4 v[10:11], v[15:18], off offset:1024 glc slc
	s_waitcnt vmcnt(3)
	global_store_dwordx4 v[10:11], v[19:22], off offset:2048 glc slc
	;; [unrolled: 2-line block ×3, first 2 shown]
	global_store_dwordx4 v[46:47], v[4:7], off glc slc
	global_store_dwordx4 v[46:47], v[15:18], off offset:1024 glc slc
	global_store_dwordx4 v[46:47], v[19:22], off offset:2048 glc slc
	;; [unrolled: 1-line block ×3, first 2 shown]
	v_add_co_u32_e32 v10, vcc, v10, v1
	v_addc_co_u32_e32 v11, vcc, 0, v11, vcc
	v_add_co_u32_e32 v46, vcc, v46, v1
	v_addc_co_u32_e32 v47, vcc, 0, v47, vcc
	s_andn2_b64 exec, exec, s[28:29]
	s_cbranch_execnz .LBB6_842
; %bb.843:                              ;   in Loop: Header=BB6_757 Depth=3
	s_or_b64 exec, exec, s[28:29]
	buffer_load_dword v19, off, s[0:3], s33 offset:144 ; 4-byte Folded Reload
	buffer_load_dword v20, off, s[0:3], s33 offset:148 ; 4-byte Folded Reload
	;; [unrolled: 1-line block ×10, first 2 shown]
	v_mov_b32_e32 v47, 1
	v_mov_b32_e32 v46, v1
	v_mov_b32_e32 v18, v25
.LBB6_844:                              ;   in Loop: Header=BB6_757 Depth=3
	s_or_b64 exec, exec, s[26:27]
	v_lshlrev_b32_e32 v34, 12, v0
	v_cmp_ne_u32_e32 vcc, v53, v34
	s_mov_b64 s[26:27], 0
	v_mov_b32_e32 v56, 0
                                        ; implicit-def: $vgpr57
                                        ; implicit-def: $vgpr0
                                        ; implicit-def: $vgpr8
	s_and_saveexec_b64 s[88:89], vcc
	s_cbranch_execz .LBB6_854
; %bb.845:                              ;   in Loop: Header=BB6_757 Depth=3
	buffer_load_dword v2, off, s[0:3], s33 offset:180 ; 4-byte Folded Reload
	v_lshlrev_b32_e32 v0, 6, v14
	v_sub_u32_e32 v1, v53, v34
	s_waitcnt vmcnt(0)
	v_sub_u32_e32 v0, v2, v0
	v_ashrrev_i32_e32 v2, 31, v0
	v_lshrrev_b32_e32 v2, 26, v2
	v_add_u32_e32 v2, v0, v2
	v_ashrrev_i32_e32 v4, 6, v2
	v_and_b32_e32 v2, 0xffffffc0, v2
	v_sub_u32_e32 v35, v0, v2
	v_ashrrev_i32_e32 v2, 31, v1
	v_lshrrev_b32_e32 v2, 22, v2
	v_add_u32_e32 v2, v1, v2
	v_and_b32_e32 v38, 0xfffffc00, v2
	v_lshlrev_b32_e32 v0, 4, v35
	v_sub_u32_e32 v48, v1, v38
	v_lshl_add_u32 v8, v4, 10, v0
	v_ashrrev_i32_e32 v5, 10, v2
	v_cmp_lt_i32_e64 s[26:27], 15, v48
	v_sub_u32_e32 v0, v1, v8
	v_addc_co_u32_e64 v1, vcc, 0, v5, s[26:27]
	v_sub_u32_e32 v39, v1, v4
	v_cmp_lt_i32_e32 vcc, 15, v0
	s_mov_b64 s[90:91], exec
	buffer_load_dword v4, off, s[0:3], s33 offset:208 ; 4-byte Folded Reload
	s_and_b64 s[28:29], s[90:91], vcc
	s_mov_b64 exec, s[28:29]
	s_cbranch_execz .LBB6_851
; %bb.846:                              ;   in Loop: Header=BB6_757 Depth=3
	v_add_u32_e32 v1, v8, v34
	v_ashrrev_i32_e32 v2, 31, v1
	v_add_co_u32_e32 v46, vcc, v1, v40
	v_addc_co_u32_e32 v47, vcc, v2, v41, vcc
	v_add_co_u32_e32 v49, vcc, v1, v42
	v_addc_co_u32_e32 v56, vcc, v2, v43, vcc
	;; [unrolled: 2-line block ×3, first 2 shown]
	s_mov_b64 s[92:93], 0
.LBB6_847:                              ;   Parent Loop BB6_47 Depth=1
                                        ;     Parent Loop BB6_754 Depth=2
                                        ;       Parent Loop BB6_757 Depth=3
                                        ; =>      This Loop Header: Depth=4
                                        ;           Child Loop BB6_848 Depth 5
	global_load_dwordx4 v[8:11], v[46:47], off glc slc
	s_mov_b64 s[94:95], -1
	s_mov_b64 s[30:31], 0
	s_waitcnt vmcnt(0)
.LBB6_848:                              ;   Parent Loop BB6_47 Depth=1
                                        ;     Parent Loop BB6_754 Depth=2
                                        ;       Parent Loop BB6_757 Depth=3
                                        ;         Parent Loop BB6_847 Depth=4
                                        ; =>        This Inner Loop Header: Depth=5
	s_cmp_eq_u32 s30, 1
	s_cselect_b64 s[28:29], -1, 0
	v_cndmask_b32_e64 v2, v56, v14, s[28:29]
	v_cndmask_b32_e64 v1, v49, v57, s[28:29]
	global_store_dwordx4 v[1:2], v[8:11], off glc slc
	v_add_co_u32_e32 v1, vcc, 0x400, v1
	s_cmp_eq_u32 s30, 0
	v_addc_co_u32_e32 v2, vcc, 0, v2, vcc
	s_cselect_b64 vcc, -1, 0
	s_and_b64 s[40:41], exec, s[94:95]
	s_mov_b64 s[30:31], 1
	v_cndmask_b32_e64 v57, v57, v1, s[28:29]
	s_mov_b64 s[94:95], 0
	v_cndmask_b32_e64 v14, v14, v2, s[28:29]
	v_cndmask_b32_e32 v56, v56, v2, vcc
	v_cndmask_b32_e32 v49, v49, v1, vcc
	s_mov_b64 vcc, s[40:41]
	s_cbranch_vccnz .LBB6_848
; %bb.849:                              ;   in Loop: Header=BB6_847 Depth=4
	buffer_load_dword v1, off, s[0:3], s33 offset:96 ; 4-byte Folded Reload
	v_add_co_u32_e32 v49, vcc, v49, v17
	v_sub_u32_e32 v0, v0, v24
	s_waitcnt vmcnt(0)
	v_addc_co_u32_e32 v56, vcc, v56, v1, vcc
	v_add_co_u32_e32 v57, vcc, v57, v17
	v_addc_co_u32_e32 v14, vcc, v14, v1, vcc
	buffer_load_dword v1, off, s[0:3], s33 offset:100 ; 4-byte Folded Reload
	v_add_co_u32_e32 v46, vcc, v4, v46
	s_waitcnt vmcnt(0)
	v_addc_co_u32_e32 v47, vcc, v1, v47, vcc
	buffer_load_dword v1, off, s[0:3], s33 offset:84 ; 4-byte Folded Reload
	v_cmp_gt_i32_e32 vcc, 16, v0
	s_or_b64 s[92:93], vcc, s[92:93]
	s_waitcnt vmcnt(0)
	v_sub_u32_e32 v39, v39, v1
	s_andn2_b64 exec, exec, s[92:93]
	s_cbranch_execnz .LBB6_847
; %bb.850:                              ;   in Loop: Header=BB6_757 Depth=3
	s_or_b64 exec, exec, s[92:93]
	buffer_load_dword v49, off, s[0:3], s33 offset:84 ; 4-byte Folded Reload
	buffer_load_dword v46, off, s[0:3], s33 offset:132 ; 4-byte Folded Reload
	v_mov_b32_e32 v47, 1
.LBB6_851:                              ;   in Loop: Header=BB6_757 Depth=3
	s_or_b64 exec, exec, s[90:91]
	v_and_b32_e32 v9, 12, v53
	v_cndmask_b32_e64 v57, v48, v9, s[26:27]
	v_mov_b32_e32 v56, 0
	v_cmp_ne_u32_e32 vcc, 0, v57
	s_mov_b64 s[40:41], 0
                                        ; implicit-def: $vgpr0
                                        ; implicit-def: $vgpr8
	s_and_saveexec_b64 s[28:29], vcc
	s_cbranch_execz .LBB6_853
; %bb.852:                              ;   in Loop: Header=BB6_757 Depth=3
	v_sub_u32_e32 v0, v48, v9
	v_cndmask_b32_e64 v0, 0, v0, s[26:27]
	v_cmp_lt_i32_e32 vcc, 0, v39
	v_add3_u32 v56, v38, v34, v0
	s_waitcnt vmcnt(1)
	v_cndmask_b32_e32 v0, 0, v49, vcc
	v_sub_u32_e32 v0, v0, v39
	v_lshl_add_u32 v0, v0, 6, v35
	v_ashrrev_i32_e32 v1, 31, v0
	v_lshrrev_b32_e32 v1, 26, v1
	v_add_u32_e32 v1, v0, v1
	v_ashrrev_i32_e32 v8, 6, v1
	s_mov_b64 s[40:41], exec
.LBB6_853:                              ;   in Loop: Header=BB6_757 Depth=3
	s_or_b64 exec, exec, s[28:29]
	buffer_load_dword v18, off, s[0:3], s33 offset:128 ; 4-byte Folded Reload
	buffer_load_dword v48, off, s[0:3], s33 offset:92 ; 4-byte Folded Reload
	s_and_b64 s[26:27], s[40:41], exec
.LBB6_854:                              ;   in Loop: Header=BB6_757 Depth=3
	s_or_b64 exec, exec, s[88:89]
	s_and_saveexec_b64 s[40:41], s[26:27]
	s_cbranch_execz .LBB6_865
.LBB6_855:                              ;   in Loop: Header=BB6_757 Depth=3
	v_ashrrev_i32_e32 v1, 31, v57
	v_lshrrev_b32_e32 v1, 21, v1
	v_add_u32_e32 v1, v57, v1
	v_ashrrev_i32_e32 v34, 11, v1
	s_waitcnt vmcnt(0)
	v_sub_u32_e32 v38, v34, v8
	v_ashrrev_i32_e32 v1, 31, v0
	v_cmp_lt_i32_e32 vcc, 0, v38
	v_lshrrev_b32_e32 v39, 26, v1
	s_and_saveexec_b64 s[26:27], vcc
	s_cbranch_execz .LBB6_859
; %bb.856:                              ;   in Loop: Header=BB6_757 Depth=3
	buffer_load_dword v15, off, s[0:3], s33 offset:160 ; 4-byte Folded Reload
	v_add_u32_e32 v1, v0, v39
	v_and_b32_e32 v1, 0x3fffffc0, v1
	v_sub_u32_e32 v1, v0, v1
	v_lshlrev_b32_e32 v1, 2, v1
	v_lshlrev_b32_e32 v2, 11, v8
	v_add3_u32 v1, v1, v56, v2
	v_ashrrev_i32_e32 v2, 31, v1
	v_add_co_u32_e32 v8, vcc, v1, v42
	v_addc_co_u32_e32 v9, vcc, v2, v43, vcc
	v_add_co_u32_e32 v10, vcc, v1, v44
	v_addc_co_u32_e32 v11, vcc, v2, v45, vcc
	;; [unrolled: 2-line block ×4, first 2 shown]
	s_mov_b64 s[28:29], 0
.LBB6_857:                              ;   Parent Loop BB6_47 Depth=1
                                        ;     Parent Loop BB6_754 Depth=2
                                        ;       Parent Loop BB6_757 Depth=3
                                        ; =>      This Inner Loop Header: Depth=4
	v_add_co_u32_e32 v1, vcc, 0xfffff900, v46
	v_addc_co_u32_e32 v2, vcc, -1, v47, vcc
	flat_load_dword v35, v[1:2] glc slc
	v_add_co_u32_e32 v1, vcc, 0xfffffa00, v46
	v_addc_co_u32_e32 v2, vcc, -1, v47, vcc
	flat_load_dword v4, v[1:2] glc slc
	;; [unrolled: 3-line block ×7, first 2 shown]
	s_nop 0
	flat_load_dword v2, v[46:47] glc slc
	v_sub_u32_e32 v38, v38, v49
	s_waitcnt vmcnt(0) lgkmcnt(0)
	flat_store_dword v[8:9], v35 glc slc
	flat_store_dword v[8:9], v4 offset:256 glc slc
	flat_store_dword v[8:9], v5 offset:512 glc slc
	;; [unrolled: 1-line block ×7, first 2 shown]
	flat_store_dword v[10:11], v35 glc slc
	flat_store_dword v[10:11], v4 offset:256 glc slc
	flat_store_dword v[10:11], v5 offset:512 glc slc
	;; [unrolled: 1-line block ×7, first 2 shown]
	v_add_co_u32_e32 v8, vcc, v8, v15
	v_addc_co_u32_e32 v9, vcc, 0, v9, vcc
	v_add_co_u32_e32 v10, vcc, v10, v15
	v_addc_co_u32_e32 v11, vcc, 0, v11, vcc
	;; [unrolled: 2-line block ×3, first 2 shown]
	v_cmp_gt_i32_e32 vcc, 1, v38
	s_or_b64 s[28:29], vcc, s[28:29]
	s_andn2_b64 exec, exec, s[28:29]
	s_cbranch_execnz .LBB6_857
; %bb.858:                              ;   in Loop: Header=BB6_757 Depth=3
	s_or_b64 exec, exec, s[28:29]
	buffer_load_dword v46, off, s[0:3], s33 offset:132 ; 4-byte Folded Reload
	v_mov_b32_e32 v47, 1
.LBB6_859:                              ;   in Loop: Header=BB6_757 Depth=3
	s_or_b64 exec, exec, s[26:27]
	v_lshlrev_b32_e32 v8, 11, v34
	v_cmp_ne_u32_e32 vcc, v57, v8
	s_and_b64 exec, exec, vcc
	s_cbranch_execz .LBB6_865
; %bb.860:                              ;   in Loop: Header=BB6_757 Depth=3
	v_add_u32_e32 v1, v0, v39
	v_and_b32_e32 v1, 0xffffffc0, v1
	v_sub_u32_e32 v0, v0, v1
	v_lshlrev_b32_e32 v1, 6, v38
	v_sub_u32_e32 v0, v0, v1
	v_ashrrev_i32_e32 v1, 31, v0
	v_lshrrev_b32_e32 v1, 26, v1
	v_add_u32_e32 v1, v0, v1
	v_and_b32_e32 v2, 0x3fffffc0, v1
	v_sub_u32_e32 v0, v0, v2
	v_lshlrev_b32_e32 v1, 2, v1
	v_and_b32_e32 v1, 0xffffff00, v1
	v_lshlrev_b32_e32 v0, 2, v0
	v_add3_u32 v8, v1, v0, v8
	v_sub_u32_e32 v0, v57, v8
	v_cmp_lt_i32_e32 vcc, 3, v0
	s_and_b64 exec, exec, vcc
	s_cbranch_execz .LBB6_865
; %bb.861:                              ;   in Loop: Header=BB6_757 Depth=3
	v_add_u32_e32 v1, v8, v56
	v_ashrrev_i32_e32 v2, 31, v1
	v_add_co_u32_e32 v8, vcc, v1, v40
	v_addc_co_u32_e32 v9, vcc, v2, v41, vcc
	v_add_co_u32_e32 v10, vcc, v1, v42
	v_addc_co_u32_e32 v11, vcc, v2, v43, vcc
	;; [unrolled: 2-line block ×3, first 2 shown]
	s_mov_b64 s[88:89], 0
.LBB6_862:                              ;   Parent Loop BB6_47 Depth=1
                                        ;     Parent Loop BB6_754 Depth=2
                                        ;       Parent Loop BB6_757 Depth=3
                                        ; =>      This Loop Header: Depth=4
                                        ;           Child Loop BB6_863 Depth 5
	flat_load_dword v35, v[8:9] glc slc
	s_mov_b64 s[90:91], -1
	s_mov_b64 s[92:93], 0
	s_waitcnt vmcnt(0)
.LBB6_863:                              ;   Parent Loop BB6_47 Depth=1
                                        ;     Parent Loop BB6_754 Depth=2
                                        ;       Parent Loop BB6_757 Depth=3
                                        ;         Parent Loop BB6_862 Depth=4
                                        ; =>        This Inner Loop Header: Depth=5
	s_cmp_eq_u32 s92, 1
	s_cselect_b64 s[26:27], -1, 0
	v_cndmask_b32_e64 v2, v11, v34, s[26:27]
	v_cndmask_b32_e64 v1, v10, v14, s[26:27]
	s_waitcnt lgkmcnt(0)
	flat_store_dword v[1:2], v35 glc slc
	v_add_co_u32_e32 v1, vcc, 0x100, v1
	s_cmp_eq_u32 s92, 0
	v_addc_co_u32_e32 v2, vcc, 0, v2, vcc
	s_cselect_b64 vcc, -1, 0
	s_and_b64 s[28:29], exec, s[90:91]
	s_mov_b64 s[92:93], 1
	v_cndmask_b32_e64 v14, v14, v1, s[26:27]
	s_mov_b64 s[90:91], 0
	v_cndmask_b32_e64 v34, v34, v2, s[26:27]
	v_cndmask_b32_e32 v11, v11, v2, vcc
	v_cndmask_b32_e32 v10, v10, v1, vcc
	s_mov_b64 vcc, s[28:29]
	s_cbranch_vccnz .LBB6_863
; %bb.864:                              ;   in Loop: Header=BB6_862 Depth=4
	buffer_load_dword v1, off, s[0:3], s33 offset:64 ; 4-byte Folded Reload
	buffer_load_dword v2, off, s[0:3], s33 offset:68 ; 4-byte Folded Reload
	v_sub_u32_e32 v0, v0, v16
	s_waitcnt vmcnt(0)
	v_add_co_u32_e32 v10, vcc, v10, v1
	v_addc_co_u32_e32 v11, vcc, v11, v2, vcc
	v_add_co_u32_e32 v14, vcc, v14, v1
	buffer_load_dword v1, off, s[0:3], s33 offset:72 ; 4-byte Folded Reload
	v_addc_co_u32_e32 v34, vcc, v34, v2, vcc
	v_cmp_gt_i32_e32 vcc, 4, v0
	s_or_b64 s[88:89], vcc, s[88:89]
	s_waitcnt vmcnt(0)
	v_add_co_u32_e32 v8, vcc, v1, v8
	buffer_load_dword v1, off, s[0:3], s33 offset:76 ; 4-byte Folded Reload
	s_waitcnt vmcnt(0)
	v_addc_co_u32_e32 v9, vcc, v1, v9, vcc
	s_andn2_b64 exec, exec, s[88:89]
	s_cbranch_execnz .LBB6_862
.LBB6_865:                              ;   in Loop: Header=BB6_757 Depth=3
	s_or_b64 exec, exec, s[40:41]
	buffer_load_dword v25, off, s[0:3], s33 offset:104 ; 4-byte Folded Reload
	buffer_load_dword v45, off, s[0:3], s33 offset:108 ; 4-byte Folded Reload
	s_branch .LBB6_839
.LBB6_866:                              ;   in Loop: Header=BB6_757 Depth=3
	s_mov_b64 s[26:27], -1
	s_and_saveexec_b64 s[28:29], s[20:21]
	s_cbranch_execz .LBB6_868
; %bb.867:                              ;   in Loop: Header=BB6_757 Depth=3
	ds_read_b32 v0, v0 offset:720
	s_waitcnt lgkmcnt(0)
	v_and_b32_e32 v0, 15, v0
	v_cmp_eq_u32_e32 vcc, 0, v0
	s_orn2_b64 s[26:27], vcc, exec
.LBB6_868:                              ;   in Loop: Header=BB6_757 Depth=3
	s_or_b64 exec, exec, s[28:29]
	s_and_saveexec_b64 s[28:29], s[18:19]
	s_cbranch_execz .LBB6_870
; %bb.869:                              ;   in Loop: Header=BB6_757 Depth=3
	ds_read_b32 v0, v0 offset:784
	s_waitcnt lgkmcnt(0)
	v_and_b32_e32 v0, 15, v0
	v_cmp_eq_u32_e32 vcc, 0, v0
	s_and_b64 s[40:41], s[26:27], vcc
	s_andn2_b64 s[26:27], s[26:27], exec
	s_and_b64 s[40:41], s[40:41], exec
	s_or_b64 s[26:27], s[26:27], s[40:41]
.LBB6_870:                              ;   in Loop: Header=BB6_757 Depth=3
	s_or_b64 exec, exec, s[28:29]
	s_xor_b64 s[26:27], s[26:27], -1
	v_cndmask_b32_e64 v1, 0, 1, s[26:27]
	s_mov_b64 s[40:41], -1
	v_mov_b32_e32 v0, 0
	v_cmp_ne_u32_e32 vcc, 0, v1
	s_cbranch_vccz .LBB6_872
; %bb.871:                              ;   in Loop: Header=BB6_757 Depth=3
	buffer_load_dword v9, off, s[0:3], s33 offset:80 ; 4-byte Folded Reload
	v_mov_b32_e32 v34, v32
	s_and_saveexec_b64 s[26:27], s[40:41]
	s_cbranch_execnz .LBB6_885
	s_branch .LBB6_893
.LBB6_872:                              ;   in Loop: Header=BB6_757 Depth=3
	buffer_load_dword v1, off, s[0:3], s33 offset:80 ; 4-byte Folded Reload
	v_ashrrev_i32_e32 v0, 31, v53
	v_lshrrev_b32_e32 v0, 19, v0
	v_add_u32_e32 v0, v53, v0
	v_ashrrev_i32_e32 v0, 13, v0
	s_waitcnt vmcnt(0)
	v_sub_u32_e32 v35, v0, v1
	v_cmp_lt_i32_e32 vcc, 0, v35
	s_and_saveexec_b64 s[28:29], vcc
	s_cbranch_execz .LBB6_876
; %bb.873:                              ;   in Loop: Header=BB6_757 Depth=3
	v_mov_b32_e32 v34, v48
	buffer_load_dword v48, off, s[0:3], s33 offset:60 ; 4-byte Folded Reload
	v_mov_b32_e32 v8, v42
	v_mov_b32_e32 v10, v40
	s_mov_b64 s[40:41], 0
	v_mov_b32_e32 v9, v43
	v_mov_b32_e32 v11, v41
	;; [unrolled: 1-line block ×3, first 2 shown]
	buffer_store_dword v33, off, s[0:3], s33 offset:212 ; 4-byte Folded Spill
.LBB6_874:                              ;   Parent Loop BB6_47 Depth=1
                                        ;     Parent Loop BB6_754 Depth=2
                                        ;       Parent Loop BB6_757 Depth=3
                                        ; =>      This Inner Loop Header: Depth=4
	s_waitcnt vmcnt(0)
	v_add_co_u32_e32 v1, vcc, v48, v10
	v_addc_co_u32_e32 v2, vcc, v34, v11, vcc
	global_load_dwordx4 v[4:7], v[1:2], off glc slc
	global_load_dwordx4 v[14:17], v[1:2], off offset:1024 glc slc
	global_load_dwordx4 v[18:21], v[1:2], off offset:2048 glc slc
	;; [unrolled: 1-line block ×3, first 2 shown]
	v_add_co_u32_e32 v1, vcc, s64, v1
	v_addc_co_u32_e32 v2, vcc, 0, v2, vcc
	global_load_dwordx4 v[28:31], v[1:2], off glc slc
	global_load_dwordx4 v[36:39], v[1:2], off offset:1024 glc slc
	global_load_dwordx4 v[44:47], v[1:2], off offset:2048 glc slc
	;; [unrolled: 1-line block ×3, first 2 shown]
	v_add_co_u32_e32 v1, vcc, v48, v8
	v_addc_co_u32_e32 v2, vcc, v34, v9, vcc
	v_add_co_u32_e32 v10, vcc, v10, v51
	v_addc_co_u32_e32 v11, vcc, 0, v11, vcc
	v_sub_u32_e32 v35, v35, v49
	v_add_co_u32_e32 v8, vcc, v8, v51
	v_addc_co_u32_e32 v9, vcc, 0, v9, vcc
	v_cmp_gt_i32_e64 s[26:27], 1, v35
	v_add_co_u32_e32 v32, vcc, s64, v1
	s_or_b64 s[40:41], s[26:27], s[40:41]
	v_addc_co_u32_e32 v33, vcc, 0, v2, vcc
	s_waitcnt vmcnt(0)
	global_store_dwordx4 v[1:2], v[4:7], off glc slc
	global_store_dwordx4 v[1:2], v[14:17], off offset:1024 glc slc
	global_store_dwordx4 v[1:2], v[18:21], off offset:2048 glc slc
	;; [unrolled: 1-line block ×3, first 2 shown]
	global_store_dwordx4 v[32:33], v[28:31], off glc slc
	global_store_dwordx4 v[32:33], v[36:39], off offset:1024 glc slc
	global_store_dwordx4 v[32:33], v[44:47], off offset:2048 glc slc
	;; [unrolled: 1-line block ×3, first 2 shown]
	s_andn2_b64 exec, exec, s[40:41]
	s_cbranch_execnz .LBB6_874
; %bb.875:                              ;   in Loop: Header=BB6_757 Depth=3
	s_or_b64 exec, exec, s[40:41]
	buffer_load_dword v32, off, s[0:3], s33 offset:220 ; 4-byte Folded Reload
	buffer_load_dword v19, off, s[0:3], s33 offset:144 ; 4-byte Folded Reload
	;; [unrolled: 1-line block ×20, first 2 shown]
	v_mov_b32_e32 v47, 1
	v_mov_b32_e32 v48, v34
	;; [unrolled: 1-line block ×3, first 2 shown]
.LBB6_876:                              ;   in Loop: Header=BB6_757 Depth=3
	s_or_b64 exec, exec, s[28:29]
	v_lshlrev_b32_e32 v8, 13, v0
	v_cmp_ne_u32_e32 vcc, v53, v8
	s_mov_b64 s[40:41], 0
	v_mov_b32_e32 v0, 0
                                        ; implicit-def: $vgpr34
                                        ; implicit-def: $vgpr9
	s_and_saveexec_b64 s[28:29], vcc
	s_cbranch_execz .LBB6_884
; %bb.877:                              ;   in Loop: Header=BB6_757 Depth=3
	buffer_load_dword v2, off, s[0:3], s33 offset:180 ; 4-byte Folded Reload
	v_lshlrev_b32_e32 v0, 6, v35
	v_sub_u32_e32 v1, v53, v8
	s_waitcnt vmcnt(0)
	v_sub_u32_e32 v0, v2, v0
	v_ashrrev_i32_e32 v2, 31, v0
	v_lshrrev_b32_e32 v2, 26, v2
	v_add_u32_e32 v2, v0, v2
	v_ashrrev_i32_e32 v4, 6, v2
	v_and_b32_e32 v2, 0xffffffc0, v2
	v_sub_u32_e32 v10, v0, v2
	v_ashrrev_i32_e32 v2, 31, v1
	v_lshrrev_b32_e32 v2, 22, v2
	v_add_u32_e32 v2, v1, v2
	v_and_b32_e32 v11, 0xfffffc00, v2
	v_lshlrev_b32_e32 v0, 4, v10
	v_sub_u32_e32 v35, v1, v11
	v_lshl_add_u32 v9, v4, 10, v0
	v_ashrrev_i32_e32 v5, 10, v2
	v_cmp_lt_i32_e32 vcc, 15, v35
	v_sub_u32_e32 v0, v1, v9
	v_addc_co_u32_e64 v1, s[26:27], 0, v5, vcc
	v_sub_u32_e32 v14, v1, v4
	v_cmp_lt_i32_e64 s[26:27], 15, v0
	s_and_saveexec_b64 s[40:41], s[26:27]
	s_cbranch_execz .LBB6_881
; %bb.878:                              ;   in Loop: Header=BB6_757 Depth=3
	v_add_u32_e32 v9, v9, v8
	v_ashrrev_i32_e32 v34, 31, v9
	s_mov_b64 s[88:89], 0
.LBB6_879:                              ;   Parent Loop BB6_47 Depth=1
                                        ;     Parent Loop BB6_754 Depth=2
                                        ;       Parent Loop BB6_757 Depth=3
                                        ; =>      This Inner Loop Header: Depth=4
	v_add_co_u32_e64 v1, s[26:27], v40, v9
	v_addc_co_u32_e64 v2, s[26:27], v41, v34, s[26:27]
	global_load_dwordx4 v[4:7], v[1:2], off glc slc
	v_add_co_u32_e64 v1, s[26:27], v42, v9
	v_addc_co_u32_e64 v2, s[26:27], v43, v34, s[26:27]
	v_add_co_u32_e64 v9, s[26:27], v9, v24
	v_sub_u32_e32 v0, v0, v24
	v_addc_co_u32_e64 v34, s[26:27], 0, v34, s[26:27]
	v_cmp_gt_i32_e64 s[26:27], 16, v0
	v_sub_u32_e32 v14, v14, v49
	s_or_b64 s[88:89], s[26:27], s[88:89]
	s_waitcnt vmcnt(0)
	global_store_dwordx4 v[1:2], v[4:7], off glc slc
	s_andn2_b64 exec, exec, s[88:89]
	s_cbranch_execnz .LBB6_879
; %bb.880:                              ;   in Loop: Header=BB6_757 Depth=3
	s_or_b64 exec, exec, s[88:89]
.LBB6_881:                              ;   in Loop: Header=BB6_757 Depth=3
	s_or_b64 exec, exec, s[40:41]
	v_and_b32_e32 v38, 12, v53
	v_cndmask_b32_e32 v53, v35, v38, vcc
	v_mov_b32_e32 v0, 0
	v_cmp_ne_u32_e64 s[26:27], 0, v53
	s_mov_b64 s[88:89], 0
                                        ; implicit-def: $vgpr34
                                        ; implicit-def: $vgpr9
	s_and_saveexec_b64 s[40:41], s[26:27]
	s_cbranch_execz .LBB6_883
; %bb.882:                              ;   in Loop: Header=BB6_757 Depth=3
	v_sub_u32_e32 v0, v35, v38
	v_cndmask_b32_e32 v0, 0, v0, vcc
	v_cmp_lt_i32_e32 vcc, 0, v14
	v_cndmask_b32_e32 v1, 0, v49, vcc
	v_sub_u32_e32 v1, v1, v14
	v_lshl_add_u32 v34, v1, 6, v10
	v_ashrrev_i32_e32 v1, 31, v34
	v_lshrrev_b32_e32 v1, 26, v1
	v_add_u32_e32 v1, v34, v1
	v_add3_u32 v0, v11, v8, v0
	v_ashrrev_i32_e32 v9, 6, v1
	s_mov_b64 s[88:89], exec
.LBB6_883:                              ;   in Loop: Header=BB6_757 Depth=3
	s_or_b64 exec, exec, s[40:41]
	s_and_b64 s[40:41], s[88:89], exec
.LBB6_884:                              ;   in Loop: Header=BB6_757 Depth=3
	s_or_b64 exec, exec, s[28:29]
	s_and_saveexec_b64 s[26:27], s[40:41]
	s_cbranch_execz .LBB6_893
.LBB6_885:                              ;   in Loop: Header=BB6_757 Depth=3
	v_ashrrev_i32_e32 v1, 31, v53
	v_lshrrev_b32_e32 v1, 21, v1
	v_add_u32_e32 v1, v53, v1
	v_ashrrev_i32_e32 v35, 11, v1
	s_waitcnt vmcnt(0)
	v_sub_u32_e32 v14, v35, v9
	v_cmp_lt_i32_e32 vcc, 0, v14
	s_and_saveexec_b64 s[28:29], vcc
	s_cbranch_execz .LBB6_889
; %bb.886:                              ;   in Loop: Header=BB6_757 Depth=3
	buffer_load_dword v21, off, s[0:3], s33 offset:160 ; 4-byte Folded Reload
	v_ashrrev_i32_e32 v1, 31, v34
	v_lshrrev_b32_e32 v1, 26, v1
	v_add_u32_e32 v1, v34, v1
	v_and_b32_e32 v1, 0x3fffffc0, v1
	v_sub_u32_e32 v1, v34, v1
	v_lshlrev_b32_e32 v1, 2, v1
	v_lshlrev_b32_e32 v2, 11, v9
	v_add3_u32 v38, v1, v0, v2
	v_mov_b32_e32 v8, v42
	v_mov_b32_e32 v10, v40
	;; [unrolled: 1-line block ×3, first 2 shown]
	v_ashrrev_i32_e32 v39, 31, v38
	s_mov_b64 s[40:41], 0
	v_mov_b32_e32 v9, v43
	v_mov_b32_e32 v11, v41
.LBB6_887:                              ;   Parent Loop BB6_47 Depth=1
                                        ;     Parent Loop BB6_754 Depth=2
                                        ;       Parent Loop BB6_757 Depth=3
                                        ; =>      This Inner Loop Header: Depth=4
	v_add_co_u32_e32 v1, vcc, v38, v10
	v_addc_co_u32_e32 v2, vcc, v39, v11, vcc
	flat_load_dword v4, v[1:2] glc slc
	flat_load_dword v5, v[1:2] offset:256 glc slc
	flat_load_dword v6, v[1:2] offset:512 glc slc
	;; [unrolled: 1-line block ×7, first 2 shown]
	v_add_co_u32_e32 v1, vcc, v38, v8
	v_addc_co_u32_e32 v2, vcc, v39, v9, vcc
	s_waitcnt vmcnt(0)
	v_add_co_u32_e32 v10, vcc, v10, v21
	v_addc_co_u32_e32 v11, vcc, 0, v11, vcc
	v_add_co_u32_e32 v8, vcc, v8, v21
	v_sub_u32_e32 v14, v14, v49
	v_addc_co_u32_e32 v9, vcc, 0, v9, vcc
	v_cmp_gt_i32_e32 vcc, 1, v14
	s_or_b64 s[40:41], vcc, s[40:41]
	s_waitcnt lgkmcnt(0)
	flat_store_dword v[1:2], v4 glc slc
	flat_store_dword v[1:2], v5 offset:256 glc slc
	flat_store_dword v[1:2], v6 offset:512 glc slc
	;; [unrolled: 1-line block ×7, first 2 shown]
	s_andn2_b64 exec, exec, s[40:41]
	s_cbranch_execnz .LBB6_887
; %bb.888:                              ;   in Loop: Header=BB6_757 Depth=3
	s_or_b64 exec, exec, s[40:41]
	buffer_load_dword v16, off, s[0:3], s33 offset:136 ; 4-byte Folded Reload
	buffer_load_dword v17, off, s[0:3], s33 offset:140 ; 4-byte Folded Reload
	v_mov_b32_e32 v18, v22
.LBB6_889:                              ;   in Loop: Header=BB6_757 Depth=3
	s_or_b64 exec, exec, s[28:29]
	v_lshlrev_b32_e32 v8, 11, v35
	v_cmp_ne_u32_e32 vcc, v53, v8
	s_and_b64 exec, exec, vcc
	s_cbranch_execz .LBB6_893
; %bb.890:                              ;   in Loop: Header=BB6_757 Depth=3
	v_ashrrev_i32_e32 v1, 31, v34
	v_lshrrev_b32_e32 v1, 26, v1
	v_add_u32_e32 v1, v34, v1
	v_and_b32_e32 v1, 0xffffffc0, v1
	v_sub_u32_e32 v1, v34, v1
	v_lshlrev_b32_e32 v2, 6, v14
	v_sub_u32_e32 v1, v1, v2
	v_ashrrev_i32_e32 v2, 31, v1
	v_lshrrev_b32_e32 v2, 26, v2
	v_add_u32_e32 v2, v1, v2
	v_and_b32_e32 v4, 0x3fffffc0, v2
	v_sub_u32_e32 v1, v1, v4
	v_lshlrev_b32_e32 v2, 2, v2
	v_and_b32_e32 v2, 0xffffff00, v2
	v_lshlrev_b32_e32 v1, 2, v1
	v_add3_u32 v9, v2, v1, v8
	v_sub_u32_e32 v8, v53, v9
	v_cmp_lt_i32_e32 vcc, 3, v8
	s_and_b64 exec, exec, vcc
	s_cbranch_execz .LBB6_893
; %bb.891:                              ;   in Loop: Header=BB6_757 Depth=3
	v_add_u32_e32 v0, v9, v0
	v_ashrrev_i32_e32 v9, 31, v0
	s_mov_b64 s[28:29], 0
.LBB6_892:                              ;   Parent Loop BB6_47 Depth=1
                                        ;     Parent Loop BB6_754 Depth=2
                                        ;       Parent Loop BB6_757 Depth=3
                                        ; =>      This Inner Loop Header: Depth=4
	v_add_co_u32_e32 v1, vcc, v40, v0
	v_addc_co_u32_e32 v2, vcc, v41, v9, vcc
	flat_load_dword v4, v[1:2] glc slc
	v_add_co_u32_e32 v1, vcc, v42, v0
	v_addc_co_u32_e32 v2, vcc, v43, v9, vcc
	s_waitcnt vmcnt(0)
	v_add_co_u32_e32 v0, vcc, v0, v16
	v_sub_u32_e32 v8, v8, v16
	v_addc_co_u32_e32 v9, vcc, 0, v9, vcc
	v_cmp_gt_i32_e32 vcc, 4, v8
	s_or_b64 s[28:29], vcc, s[28:29]
	s_waitcnt lgkmcnt(0)
	flat_store_dword v[1:2], v4 glc slc
	s_andn2_b64 exec, exec, s[28:29]
	s_cbranch_execnz .LBB6_892
.LBB6_893:                              ;   in Loop: Header=BB6_757 Depth=3
	s_or_b64 exec, exec, s[26:27]
	s_waitcnt vmcnt(0)
	v_cmp_lt_i32_e64 s[26:27], 0, v33
	buffer_load_dword v43, off, s[0:3], s33 offset:60 ; 4-byte Folded Reload
	s_and_saveexec_b64 s[28:29], s[10:11]
	s_cbranch_execz .LBB6_833
.LBB6_894:                              ;   in Loop: Header=BB6_757 Depth=3
	s_and_saveexec_b64 s[40:41], s[56:57]
	s_xor_b64 s[40:41], exec, s[40:41]
	s_cbranch_execz .LBB6_909
; %bb.895:                              ;   in Loop: Header=BB6_757 Depth=3
	s_and_saveexec_b64 s[88:89], s[16:17]
	s_cbranch_execz .LBB6_908
; %bb.896:                              ;   in Loop: Header=BB6_757 Depth=3
	s_mov_b64 s[92:93], exec
	v_mbcnt_lo_u32_b32 v0, s92, 0
	v_mbcnt_hi_u32_b32 v0, s93, v0
	v_cmp_eq_u32_e32 vcc, 0, v0
	s_waitcnt vmcnt(0) lgkmcnt(0)
	buffer_wbinvl1_vol
	s_and_saveexec_b64 s[90:91], vcc
	s_cbranch_execz .LBB6_898
; %bb.897:                              ;   in Loop: Header=BB6_757 Depth=3
	s_bcnt1_i32_b64 s92, s[92:93]
	v_mov_b32_e32 v0, s92
	v_mov_b32_e32 v1, v23
	ds_add_u64 v0, v[0:1]
	s_trap 2
.LBB6_898:                              ;   in Loop: Header=BB6_757 Depth=3
	s_or_b64 exec, exec, s[90:91]
	s_trap 2
	ds_read_b64 v[0:1], v0
	s_waitcnt lgkmcnt(0)
	v_add_co_u32_e32 v12, vcc, v12, v49
	v_addc_co_u32_e32 v13, vcc, 0, v13, vcc
	v_cmp_lt_u64_e32 vcc, v[0:1], v[12:13]
	s_and_saveexec_b64 s[90:91], vcc
	s_cbranch_execz .LBB6_907
; %bb.899:                              ;   in Loop: Header=BB6_757 Depth=3
	s_mov_b32 s38, 0
	s_mov_b64 s[92:93], 0
                                        ; implicit-def: $sgpr94_sgpr95
                                        ; implicit-def: $sgpr30_sgpr31
	s_branch .LBB6_901
.LBB6_900:                              ;   in Loop: Header=BB6_901 Depth=4
	s_or_b64 exec, exec, s[36:37]
	s_and_b64 vcc, exec, vcc
	s_or_b64 s[92:93], vcc, s[92:93]
	s_andn2_b64 s[94:95], s[94:95], exec
	s_and_b64 vcc, s[30:31], exec
	s_or_b64 s[94:95], s[94:95], vcc
	s_andn2_b64 exec, exec, s[92:93]
	s_cbranch_execz .LBB6_905
.LBB6_901:                              ;   Parent Loop BB6_47 Depth=1
                                        ;     Parent Loop BB6_754 Depth=2
                                        ;       Parent Loop BB6_757 Depth=3
                                        ; =>      This Inner Loop Header: Depth=4
	s_add_i32 s38, s38, 1
	s_cmpk_lg_i32 s38, 0x2710
	s_cselect_b64 s[34:35], -1, 0
	s_and_b64 vcc, exec, s[34:35]
	s_cbranch_vccz .LBB6_903
; %bb.902:                              ;   in Loop: Header=BB6_901 Depth=4
	s_mov_b64 vcc, -1
	s_or_b64 s[30:31], s[30:31], exec
	s_and_saveexec_b64 s[36:37], s[34:35]
	s_cbranch_execz .LBB6_900
	s_branch .LBB6_904
.LBB6_903:                              ;   in Loop: Header=BB6_901 Depth=4
	s_trap 2
	ds_read_b64 v[0:1], v0
	s_andn2_b64 s[34:35], s[34:35], exec
	s_mov_b32 s38, 0
	s_waitcnt lgkmcnt(0)
	flat_load_dword v0, v[0:1] glc
	s_waitcnt vmcnt(0) lgkmcnt(0)
	buffer_wbinvl1_vol
	v_cmp_eq_u32_e32 vcc, 0, v0
	s_and_b64 vcc, vcc, exec
	s_or_b64 s[34:35], s[34:35], vcc
	s_mov_b64 vcc, -1
	s_or_b64 s[30:31], s[30:31], exec
	s_and_saveexec_b64 s[36:37], s[34:35]
	s_cbranch_execz .LBB6_900
.LBB6_904:                              ;   in Loop: Header=BB6_901 Depth=4
	s_sleep 1
	s_trap 2
	ds_read_b64 v[0:1], v0
	s_waitcnt lgkmcnt(0)
	s_andn2_b64 s[30:31], s[30:31], exec
	v_cmp_ge_u64_e32 vcc, v[0:1], v[12:13]
	s_orn2_b64 vcc, vcc, exec
	s_branch .LBB6_900
.LBB6_905:                              ;   in Loop: Header=BB6_757 Depth=3
	s_or_b64 exec, exec, s[92:93]
	s_and_saveexec_b64 s[92:93], s[94:95]
	s_xor_b64 s[92:93], exec, s[92:93]
	s_cbranch_execz .LBB6_907
; %bb.906:                              ;   in Loop: Header=BB6_757 Depth=3
	ds_write_b32 v0, v47
	s_trap 2
.LBB6_907:                              ;   in Loop: Header=BB6_757 Depth=3
	s_or_b64 exec, exec, s[90:91]
	;;#ASMSTART
	s_wakeup
	;;#ASMEND
.LBB6_908:                              ;   in Loop: Header=BB6_757 Depth=3
	s_or_b64 exec, exec, s[88:89]
.LBB6_909:                              ;   in Loop: Header=BB6_757 Depth=3
	s_andn2_saveexec_b64 s[40:41], s[40:41]
	s_cbranch_execz .LBB6_911
; %bb.910:                              ;   in Loop: Header=BB6_757 Depth=3
	s_waitcnt vmcnt(0) lgkmcnt(0)
	buffer_wbinvl1_vol
	s_barrier
.LBB6_911:                              ;   in Loop: Header=BB6_757 Depth=3
	s_or_b64 exec, exec, s[40:41]
	s_or_b64 exec, exec, s[28:29]
                                        ; implicit-def: $vgpr0
	s_and_saveexec_b64 s[28:29], s[24:25]
	s_xor_b64 s[28:29], exec, s[28:29]
	s_cbranch_execnz .LBB6_834
.LBB6_912:                              ;   in Loop: Header=BB6_757 Depth=3
	s_andn2_saveexec_b64 s[26:27], s[28:29]
	s_cbranch_execz .LBB6_931
.LBB6_913:                              ;   in Loop: Header=BB6_757 Depth=3
	s_and_saveexec_b64 s[28:29], s[56:57]
	s_xor_b64 s[28:29], exec, s[28:29]
	s_cbranch_execz .LBB6_928
; %bb.914:                              ;   in Loop: Header=BB6_757 Depth=3
	s_and_saveexec_b64 s[40:41], s[16:17]
	s_cbranch_execz .LBB6_927
; %bb.915:                              ;   in Loop: Header=BB6_757 Depth=3
	s_mov_b64 s[90:91], exec
	v_mbcnt_lo_u32_b32 v0, s90, 0
	v_mbcnt_hi_u32_b32 v0, s91, v0
	v_cmp_eq_u32_e32 vcc, 0, v0
	;;#ASMSTART
	s_waitcnt lgkmcnt(0) vmcnt(0)
	;;#ASMEND
	s_and_saveexec_b64 s[88:89], vcc
	s_cbranch_execz .LBB6_917
; %bb.916:                              ;   in Loop: Header=BB6_757 Depth=3
	s_bcnt1_i32_b64 s90, s[90:91]
	v_mov_b32_e32 v0, s90
	v_mov_b32_e32 v1, v23
	s_waitcnt lgkmcnt(0)
	ds_add_u64 v0, v[0:1]
	s_trap 2
.LBB6_917:                              ;   in Loop: Header=BB6_757 Depth=3
	s_or_b64 exec, exec, s[88:89]
	s_trap 2
	ds_read_b64 v[0:1], v0
	s_waitcnt vmcnt(0) lgkmcnt(0)
	v_add_co_u32_e32 v12, vcc, v12, v49
	v_addc_co_u32_e32 v13, vcc, 0, v13, vcc
	v_cmp_lt_u64_e32 vcc, v[0:1], v[12:13]
	s_and_saveexec_b64 s[88:89], vcc
	s_cbranch_execz .LBB6_926
; %bb.918:                              ;   in Loop: Header=BB6_757 Depth=3
	s_mov_b32 s36, 0
	s_mov_b64 s[90:91], 0
                                        ; implicit-def: $sgpr92_sgpr93
                                        ; implicit-def: $sgpr94_sgpr95
	s_branch .LBB6_920
.LBB6_919:                              ;   in Loop: Header=BB6_920 Depth=4
	s_or_b64 exec, exec, s[34:35]
	s_and_b64 vcc, exec, vcc
	s_or_b64 s[90:91], vcc, s[90:91]
	s_andn2_b64 s[92:93], s[92:93], exec
	s_and_b64 vcc, s[94:95], exec
	s_or_b64 s[92:93], s[92:93], vcc
	s_andn2_b64 exec, exec, s[90:91]
	s_cbranch_execz .LBB6_924
.LBB6_920:                              ;   Parent Loop BB6_47 Depth=1
                                        ;     Parent Loop BB6_754 Depth=2
                                        ;       Parent Loop BB6_757 Depth=3
                                        ; =>      This Inner Loop Header: Depth=4
	s_add_i32 s36, s36, 1
	s_cmpk_lg_i32 s36, 0x2710
	s_cselect_b64 s[30:31], -1, 0
	s_and_b64 vcc, exec, s[30:31]
	s_cbranch_vccz .LBB6_922
; %bb.921:                              ;   in Loop: Header=BB6_920 Depth=4
	s_mov_b64 vcc, -1
	s_or_b64 s[94:95], s[94:95], exec
	s_and_saveexec_b64 s[34:35], s[30:31]
	s_cbranch_execz .LBB6_919
	s_branch .LBB6_923
.LBB6_922:                              ;   in Loop: Header=BB6_920 Depth=4
	s_trap 2
	ds_read_b64 v[0:1], v0
	s_andn2_b64 s[30:31], s[30:31], exec
	s_mov_b32 s36, 0
	s_waitcnt lgkmcnt(0)
	flat_load_dword v0, v[0:1] glc
	s_waitcnt vmcnt(0) lgkmcnt(0)
	buffer_wbinvl1_vol
	v_cmp_eq_u32_e32 vcc, 0, v0
	s_and_b64 vcc, vcc, exec
	s_or_b64 s[30:31], s[30:31], vcc
	s_mov_b64 vcc, -1
	s_or_b64 s[94:95], s[94:95], exec
	s_and_saveexec_b64 s[34:35], s[30:31]
	s_cbranch_execz .LBB6_919
.LBB6_923:                              ;   in Loop: Header=BB6_920 Depth=4
	s_sleep 1
	s_trap 2
	ds_read_b64 v[0:1], v0
	s_waitcnt lgkmcnt(0)
	s_andn2_b64 s[94:95], s[94:95], exec
	v_cmp_ge_u64_e32 vcc, v[0:1], v[12:13]
	s_orn2_b64 vcc, vcc, exec
	s_branch .LBB6_919
.LBB6_924:                              ;   in Loop: Header=BB6_757 Depth=3
	s_or_b64 exec, exec, s[90:91]
	s_and_saveexec_b64 s[90:91], s[92:93]
	s_xor_b64 s[90:91], exec, s[90:91]
	s_cbranch_execz .LBB6_926
; %bb.925:                              ;   in Loop: Header=BB6_757 Depth=3
	ds_write_b32 v0, v47
	s_trap 2
.LBB6_926:                              ;   in Loop: Header=BB6_757 Depth=3
	s_or_b64 exec, exec, s[88:89]
	;;#ASMSTART
	s_wakeup
	;;#ASMEND
.LBB6_927:                              ;   in Loop: Header=BB6_757 Depth=3
	s_or_b64 exec, exec, s[40:41]
.LBB6_928:                              ;   in Loop: Header=BB6_757 Depth=3
	s_andn2_saveexec_b64 s[28:29], s[28:29]
	s_cbranch_execz .LBB6_930
; %bb.929:                              ;   in Loop: Header=BB6_757 Depth=3
	;;#ASMSTART
	s_waitcnt lgkmcnt(0) vmcnt(0)
	;;#ASMEND
	s_waitcnt vmcnt(0) lgkmcnt(0)
	s_barrier
.LBB6_930:                              ;   in Loop: Header=BB6_757 Depth=3
	s_or_b64 exec, exec, s[28:29]
	v_and_b32_e32 v0, 16, v62
.LBB6_931:                              ;   in Loop: Header=BB6_757 Depth=3
	s_or_b64 exec, exec, s[26:27]
	v_cmp_ne_u32_e32 vcc, 0, v0
	s_xor_b64 s[26:27], s[12:13], -1
	s_and_b64 s[28:29], vcc, s[26:27]
	s_and_saveexec_b64 s[26:27], s[28:29]
	s_cbranch_execz .LBB6_933
; %bb.932:                              ;   in Loop: Header=BB6_757 Depth=3
	s_waitcnt vmcnt(0)
	flat_store_dword v[30:31], v47
.LBB6_933:                              ;   in Loop: Header=BB6_757 Depth=3
	s_or_b64 exec, exec, s[26:27]
	v_and_b32_e32 v0, 48, v62
	v_cmp_ne_u32_e32 vcc, 0, v0
	s_and_saveexec_b64 s[26:27], vcc
	s_cbranch_execz .LBB6_756
; %bb.934:                              ;   in Loop: Header=BB6_757 Depth=3
	v_mov_b32_e32 v0, v54
	v_mov_b32_e32 v1, v55
	v_add_co_u32_e32 v0, vcc, 2, v0
	v_addc_co_u32_e32 v1, vcc, 0, v1, vcc
	v_mov_b32_e32 v55, v1
	v_mov_b32_e32 v54, v0
	flat_store_dwordx2 v[60:61], v[0:1]
	s_branch .LBB6_756
.LBB6_935:                              ;   in Loop: Header=BB6_754 Depth=2
	s_or_b64 exec, exec, s[42:43]
	v_cmp_gt_i32_e32 vcc, 2, v0
	s_and_saveexec_b64 s[28:29], vcc
	s_cbranch_execz .LBB6_1011
.LBB6_936:                              ;   in Loop: Header=BB6_754 Depth=2
	v_cmp_eq_u32_e64 s[42:43], 0, v0
	s_mov_b64 s[40:41], 0
	s_branch .LBB6_938
.LBB6_937:                              ;   in Loop: Header=BB6_938 Depth=3
	s_or_b64 exec, exec, s[26:27]
	v_add_u32_e32 v52, v50, v52
	s_mov_b64 s[42:43], 0
	s_andn2_b64 exec, exec, s[40:41]
	s_cbranch_execz .LBB6_1012
.LBB6_938:                              ;   Parent Loop BB6_47 Depth=1
                                        ;     Parent Loop BB6_754 Depth=2
                                        ; =>    This Loop Header: Depth=3
                                        ;         Child Loop BB6_944 Depth 4
                                        ;         Child Loop BB6_972 Depth 4
                                        ;         Child Loop BB6_995 Depth 4
	v_sub_u32_e32 v0, v3, v52
	v_min_i32_e32 v50, v50, v0
	v_and_b32_e32 v0, 12, v62
	v_cmp_ne_u32_e32 vcc, 0, v0
	s_and_saveexec_b64 s[76:77], vcc
	s_cbranch_execz .LBB6_964
; %bb.939:                              ;   in Loop: Header=BB6_938 Depth=3
	v_and_b32_e32 v0, 8, v62
	s_waitcnt vmcnt(0) lgkmcnt(0)
	v_add_co_u32_e32 v1, vcc, v26, v0
	v_addc_co_u32_e32 v2, vcc, 0, v27, vcc
	v_mov_b32_e32 v4, v54
	v_mov_b32_e32 v5, v55
	v_add_co_u32_e32 v8, vcc, 2, v4
	v_addc_co_u32_e32 v9, vcc, 0, v5, vcc
	v_cmp_lt_u64_e32 vcc, v[1:2], v[8:9]
	s_and_saveexec_b64 s[78:79], vcc
	s_cbranch_execz .LBB6_951
; %bb.940:                              ;   in Loop: Header=BB6_938 Depth=3
	v_and_b32_e32 v1, 64, v62
	s_mov_b32 s50, 0
	v_cmp_eq_u32_e32 vcc, 0, v1
	s_mov_b64 s[88:89], 0
                                        ; implicit-def: $sgpr90_sgpr91
                                        ; implicit-def: $sgpr92_sgpr93
                                        ; implicit-def: $sgpr94_sgpr95
	s_branch .LBB6_944
.LBB6_941:                              ;   in Loop: Header=BB6_944 Depth=4
	s_waitcnt vmcnt(0) lgkmcnt(0)
	v_add_co_u32_e64 v1, s[26:27], v26, v0
	v_addc_co_u32_e64 v2, s[26:27], 0, v27, s[26:27]
	v_cmp_ge_u64_e64 s[26:27], v[1:2], v[8:9]
	s_or_b64 s[36:37], s[36:37], exec
	s_orn2_b64 s[34:35], s[26:27], exec
.LBB6_942:                              ;   in Loop: Header=BB6_944 Depth=4
	s_or_b64 exec, exec, s[48:49]
	s_andn2_b64 s[26:27], s[94:95], exec
	s_and_b64 s[94:95], s[36:37], exec
	s_or_b64 s[94:95], s[26:27], s[94:95]
	s_andn2_b64 s[26:27], s[92:93], exec
	s_and_b64 s[92:93], s[34:35], exec
	s_or_b64 s[92:93], s[26:27], s[92:93]
.LBB6_943:                              ;   in Loop: Header=BB6_944 Depth=4
	s_or_b64 exec, exec, s[30:31]
	s_and_b64 s[26:27], exec, s[92:93]
	s_or_b64 s[88:89], s[26:27], s[88:89]
	s_andn2_b64 s[26:27], s[90:91], exec
	s_and_b64 s[90:91], s[94:95], exec
	s_or_b64 s[90:91], s[26:27], s[90:91]
	s_andn2_b64 exec, exec, s[88:89]
	s_cbranch_execz .LBB6_948
.LBB6_944:                              ;   Parent Loop BB6_47 Depth=1
                                        ;     Parent Loop BB6_754 Depth=2
                                        ;       Parent Loop BB6_938 Depth=3
                                        ; =>      This Inner Loop Header: Depth=4
	s_sleep 1
	s_waitcnt vmcnt(0) lgkmcnt(0)
	flat_load_dwordx2 v[26:27], v[60:61] glc
	s_or_b64 s[94:95], s[94:95], exec
	s_or_b64 s[92:93], s[92:93], exec
                                        ; implicit-def: $vgpr10
	s_and_saveexec_b64 s[30:31], vcc
	s_cbranch_execz .LBB6_943
; %bb.945:                              ;   in Loop: Header=BB6_944 Depth=4
	s_cmpk_lt_i32 s50, 0x270f
	s_cselect_b64 s[38:39], -1, 0
	s_cmpk_gt_i32 s50, 0x270e
	s_mov_b64 s[34:35], -1
	s_cbranch_scc0 .LBB6_947
; %bb.946:                              ;   in Loop: Header=BB6_944 Depth=4
	s_trap 2
	ds_read_b64 v[1:2], v0
	s_andn2_b64 s[38:39], s[38:39], exec
	s_mov_b32 s50, 0
	s_mov_b64 s[36:37], 0
	s_waitcnt vmcnt(0) lgkmcnt(0)
	flat_load_dword v10, v[1:2] glc
	s_waitcnt vmcnt(0) lgkmcnt(0)
	buffer_wbinvl1_vol
	v_cmp_eq_u32_e64 s[26:27], 0, v10
	s_and_b64 s[26:27], s[26:27], exec
	s_or_b64 s[38:39], s[38:39], s[26:27]
	s_and_saveexec_b64 s[48:49], s[38:39]
	s_cbranch_execz .LBB6_942
	s_branch .LBB6_941
.LBB6_947:                              ;   in Loop: Header=BB6_944 Depth=4
	s_add_i32 s50, s50, 1
	s_mov_b64 s[36:37], -1
                                        ; implicit-def: $vgpr10
	s_and_saveexec_b64 s[48:49], s[38:39]
	s_cbranch_execz .LBB6_942
	s_branch .LBB6_941
.LBB6_948:                              ;   in Loop: Header=BB6_938 Depth=3
	s_or_b64 exec, exec, s[88:89]
	s_xor_b64 s[26:27], s[90:91], -1
	s_and_saveexec_b64 s[88:89], s[26:27]
	s_xor_b64 s[26:27], exec, s[88:89]
	s_cbranch_execz .LBB6_950
; %bb.949:                              ;   in Loop: Header=BB6_938 Depth=3
	v_or_b32_e32 v62, 64, v62
	s_waitcnt lgkmcnt(0)
	ds_write_b32 v0, v10
	s_trap 2
.LBB6_950:                              ;   in Loop: Header=BB6_938 Depth=3
	s_or_b64 exec, exec, s[26:27]
.LBB6_951:                              ;   in Loop: Header=BB6_938 Depth=3
	s_or_b64 exec, exec, s[78:79]
	v_and_b32_e32 v1, 0x108, v62
	v_cmp_ne_u32_e32 vcc, s65, v1
	;;#ASMSTART
	s_wakeup
	;;#ASMEND
                                        ; implicit-def: $vgpr10_vgpr11
	s_and_saveexec_b64 s[26:27], vcc
	s_xor_b64 s[26:27], exec, s[26:27]
; %bb.952:                              ;   in Loop: Header=BB6_938 Depth=3
	v_and_b32_e32 v10, 7, v54
	v_mov_b32_e32 v11, v23
                                        ; implicit-def: $vgpr54_vgpr55
; %bb.953:                              ;   in Loop: Header=BB6_938 Depth=3
	s_andn2_saveexec_b64 s[26:27], s[26:27]
	s_cbranch_execz .LBB6_955
; %bb.954:                              ;   in Loop: Header=BB6_938 Depth=3
	v_and_b32_e32 v10, 7, v54
	v_mad_u64_u32 v[1:2], s[78:79], v10, 24, v[19:20]
	v_ashrrev_i32_e32 v51, 31, v50
	v_lshlrev_b64 v[4:5], 2, v[50:51]
	v_mov_b32_e32 v11, v23
	flat_store_dwordx2 v[1:2], v[4:5] offset:8
.LBB6_955:                              ;   in Loop: Header=BB6_938 Depth=3
	s_or_b64 exec, exec, s[26:27]
	v_and_b32_e32 v1, 0x100, v62
	v_cmp_ne_u32_e32 vcc, 0, v1
	s_mov_b64 s[26:27], -1
                                        ; implicit-def: $vgpr36_vgpr37
	s_and_saveexec_b64 s[78:79], vcc
	s_cbranch_execz .LBB6_959
; %bb.956:                              ;   in Loop: Header=BB6_938 Depth=3
	v_mad_u64_u32 v[53:54], s[26:27], v10, 24, v[19:20]
                                        ; implicit-def: $vgpr36_vgpr37
	v_mov_b32_e32 v1, v54
	v_mad_u64_u32 v[1:2], s[26:27], v11, 24, v[1:2]
	v_mov_b32_e32 v54, v1
	flat_load_dword v1, v[53:54]
	s_waitcnt vmcnt(0) lgkmcnt(0)
	v_cmp_ne_u32_e32 vcc, 1, v1
	v_cmp_eq_u32_e64 s[26:27], 1, v1
	s_and_saveexec_b64 s[88:89], s[26:27]
	s_cbranch_execz .LBB6_958
; %bb.957:                              ;   in Loop: Header=BB6_938 Depth=3
	flat_load_dword v1, v[53:54] offset:4 glc
	s_waitcnt vmcnt(0) lgkmcnt(0)
	v_ashrrev_i32_e32 v2, 31, v1
	v_lshrrev_b64 v[36:37], 2, v[1:2]
.LBB6_958:                              ;   in Loop: Header=BB6_938 Depth=3
	s_or_b64 exec, exec, s[88:89]
	s_orn2_b64 s[26:27], vcc, exec
.LBB6_959:                              ;   in Loop: Header=BB6_938 Depth=3
	s_or_b64 exec, exec, s[78:79]
	s_and_saveexec_b64 s[78:79], s[26:27]
	s_cbranch_execz .LBB6_961
; %bb.960:                              ;   in Loop: Header=BB6_938 Depth=3
	v_mul_lo_u32 v1, v11, v58
	v_mul_lo_u32 v2, v10, v59
	v_mad_u64_u32 v[36:37], s[26:27], v10, v58, 0
	v_add3_u32 v37, v37, v2, v1
.LBB6_961:                              ;   in Loop: Header=BB6_938 Depth=3
	s_or_b64 exec, exec, s[78:79]
	v_cmp_eq_u32_e32 vcc, 0, v0
	v_mov_b32_e32 v0, 0xd0
	v_mov_b32_e32 v1, 0x88
	v_cndmask_b32_e32 v2, v0, v1, vcc
	v_lshlrev_b64 v[0:1], 2, v[36:37]
	v_add_co_u32_e32 v0, vcc, v28, v0
	v_addc_co_u32_e32 v1, vcc, v29, v1, vcc
	v_add_u32_e32 v2, v0, v2
	ds_write_b64 v2, v[0:1] offset:584
	v_and_b32_e32 v0, 0x2000, v62
	v_cmp_ne_u32_e32 vcc, 0, v0
	s_and_saveexec_b64 s[26:27], vcc
	s_cbranch_execz .LBB6_963
; %bb.962:                              ;   in Loop: Header=BB6_938 Depth=3
	ds_read_b64 v[0:1], v0 offset:872
	s_waitcnt lgkmcnt(0)
	v_add_co_u32_e32 v0, vcc, 1, v0
	v_addc_co_u32_e32 v1, vcc, 0, v1, vcc
	ds_write_b64 v0, v[0:1] offset:872
.LBB6_963:                              ;   in Loop: Header=BB6_938 Depth=3
	s_or_b64 exec, exec, s[26:27]
	v_mov_b32_e32 v55, v9
	v_mov_b32_e32 v54, v8
.LBB6_964:                              ;   in Loop: Header=BB6_938 Depth=3
	s_or_b64 exec, exec, s[76:77]
	s_xor_b64 s[26:27], s[42:43], -1
	s_and_b64 s[26:27], exec, s[26:27]
	s_or_b64 s[40:41], s[26:27], s[40:41]
	s_and_saveexec_b64 s[26:27], s[10:11]
	s_cbranch_execz .LBB6_983
; %bb.965:                              ;   in Loop: Header=BB6_938 Depth=3
	s_and_saveexec_b64 s[42:43], s[56:57]
	s_xor_b64 s[42:43], exec, s[42:43]
	s_cbranch_execz .LBB6_980
; %bb.966:                              ;   in Loop: Header=BB6_938 Depth=3
	s_and_saveexec_b64 s[76:77], s[16:17]
	s_cbranch_execz .LBB6_979
; %bb.967:                              ;   in Loop: Header=BB6_938 Depth=3
	s_mov_b64 s[88:89], exec
	v_mbcnt_lo_u32_b32 v0, s88, 0
	v_mbcnt_hi_u32_b32 v0, s89, v0
	v_cmp_eq_u32_e32 vcc, 0, v0
	s_waitcnt vmcnt(0) lgkmcnt(0)
	buffer_wbinvl1_vol
	s_and_saveexec_b64 s[78:79], vcc
	s_cbranch_execz .LBB6_969
; %bb.968:                              ;   in Loop: Header=BB6_938 Depth=3
	s_bcnt1_i32_b64 s88, s[88:89]
	v_mov_b32_e32 v0, s88
	v_mov_b32_e32 v1, v23
	ds_add_u64 v0, v[0:1]
	s_trap 2
.LBB6_969:                              ;   in Loop: Header=BB6_938 Depth=3
	s_or_b64 exec, exec, s[78:79]
	s_trap 2
	ds_read_b64 v[0:1], v0
	s_waitcnt lgkmcnt(0)
	v_add_co_u32_e32 v12, vcc, v12, v49
	v_addc_co_u32_e32 v13, vcc, 0, v13, vcc
	v_cmp_lt_u64_e32 vcc, v[0:1], v[12:13]
	s_and_saveexec_b64 s[78:79], vcc
	s_cbranch_execz .LBB6_978
; %bb.970:                              ;   in Loop: Header=BB6_938 Depth=3
	s_mov_b32 s34, 0
	s_mov_b64 s[88:89], 0
                                        ; implicit-def: $sgpr90_sgpr91
                                        ; implicit-def: $sgpr92_sgpr93
	s_branch .LBB6_972
.LBB6_971:                              ;   in Loop: Header=BB6_972 Depth=4
	s_or_b64 exec, exec, s[30:31]
	s_and_b64 s[94:95], exec, vcc
	s_or_b64 s[88:89], s[94:95], s[88:89]
	s_andn2_b64 s[90:91], s[90:91], exec
	s_and_b64 s[94:95], s[92:93], exec
	s_or_b64 s[90:91], s[90:91], s[94:95]
	s_andn2_b64 exec, exec, s[88:89]
	s_cbranch_execz .LBB6_976
.LBB6_972:                              ;   Parent Loop BB6_47 Depth=1
                                        ;     Parent Loop BB6_754 Depth=2
                                        ;       Parent Loop BB6_938 Depth=3
                                        ; =>      This Inner Loop Header: Depth=4
	s_add_i32 s34, s34, 1
	s_cmpk_lg_i32 s34, 0x2710
	s_cselect_b64 s[94:95], -1, 0
	s_and_b64 vcc, exec, s[94:95]
	s_cbranch_vccz .LBB6_974
; %bb.973:                              ;   in Loop: Header=BB6_972 Depth=4
	s_mov_b64 vcc, -1
	s_or_b64 s[92:93], s[92:93], exec
	s_and_saveexec_b64 s[30:31], s[94:95]
	s_cbranch_execz .LBB6_971
	s_branch .LBB6_975
.LBB6_974:                              ;   in Loop: Header=BB6_972 Depth=4
	s_trap 2
	ds_read_b64 v[0:1], v0
	s_andn2_b64 s[94:95], s[94:95], exec
	s_mov_b32 s34, 0
	s_waitcnt lgkmcnt(0)
	flat_load_dword v0, v[0:1] glc
	s_waitcnt vmcnt(0) lgkmcnt(0)
	buffer_wbinvl1_vol
	v_cmp_eq_u32_e32 vcc, 0, v0
	s_and_b64 vcc, vcc, exec
	s_or_b64 s[94:95], s[94:95], vcc
	s_mov_b64 vcc, -1
	s_or_b64 s[92:93], s[92:93], exec
	s_and_saveexec_b64 s[30:31], s[94:95]
	s_cbranch_execz .LBB6_971
.LBB6_975:                              ;   in Loop: Header=BB6_972 Depth=4
	s_sleep 1
	s_trap 2
	ds_read_b64 v[0:1], v0
	s_waitcnt lgkmcnt(0)
	s_andn2_b64 s[92:93], s[92:93], exec
	v_cmp_ge_u64_e32 vcc, v[0:1], v[12:13]
	s_orn2_b64 vcc, vcc, exec
	s_branch .LBB6_971
.LBB6_976:                              ;   in Loop: Header=BB6_938 Depth=3
	s_or_b64 exec, exec, s[88:89]
	s_and_saveexec_b64 s[88:89], s[90:91]
	s_xor_b64 s[88:89], exec, s[88:89]
	s_cbranch_execz .LBB6_978
; %bb.977:                              ;   in Loop: Header=BB6_938 Depth=3
	ds_write_b32 v0, v47
	s_trap 2
.LBB6_978:                              ;   in Loop: Header=BB6_938 Depth=3
	s_or_b64 exec, exec, s[78:79]
	;;#ASMSTART
	s_wakeup
	;;#ASMEND
.LBB6_979:                              ;   in Loop: Header=BB6_938 Depth=3
	s_or_b64 exec, exec, s[76:77]
.LBB6_980:                              ;   in Loop: Header=BB6_938 Depth=3
	s_andn2_saveexec_b64 s[42:43], s[42:43]
	s_cbranch_execz .LBB6_982
; %bb.981:                              ;   in Loop: Header=BB6_938 Depth=3
	s_waitcnt vmcnt(0) lgkmcnt(0)
	buffer_wbinvl1_vol
	s_barrier
.LBB6_982:                              ;   in Loop: Header=BB6_938 Depth=3
	s_or_b64 exec, exec, s[42:43]
.LBB6_983:                              ;   in Loop: Header=BB6_938 Depth=3
	s_or_b64 exec, exec, s[26:27]
                                        ; implicit-def: $vgpr0
	s_and_saveexec_b64 s[26:27], s[24:25]
	s_xor_b64 s[26:27], exec, s[26:27]
	s_cbranch_execz .LBB6_987
; %bb.984:                              ;   in Loop: Header=BB6_938 Depth=3
	s_trap 2
	ds_read_b32 v0, v0
	v_cmp_lt_i32_e32 vcc, 0, v50
	v_and_b32_e32 v1, 16, v62
	s_waitcnt lgkmcnt(0)
	v_readfirstlane_b32 s42, v0
	s_cmp_eq_u32 s42, 0
	s_cselect_b64 s[42:43], -1, 0
	s_and_b64 s[42:43], vcc, s[42:43]
	v_cmp_ne_u32_e32 vcc, 0, v1
	v_and_b32_e32 v0, 16, v62
	s_and_b64 s[76:77], vcc, s[42:43]
	s_and_saveexec_b64 s[42:43], s[76:77]
	s_cbranch_execz .LBB6_986
; %bb.985:                              ;   in Loop: Header=BB6_938 Depth=3
	v_mov_b32_e32 v0, 1
	s_waitcnt vmcnt(0)
	buffer_wbinvl1_vol
.LBB6_986:                              ;   in Loop: Header=BB6_938 Depth=3
	s_or_b64 exec, exec, s[42:43]
	s_andn2_saveexec_b64 s[26:27], s[26:27]
	s_cbranch_execz .LBB6_1006
	s_branch .LBB6_988
.LBB6_987:                              ;   in Loop: Header=BB6_938 Depth=3
	s_andn2_saveexec_b64 s[26:27], s[26:27]
	s_cbranch_execz .LBB6_1006
.LBB6_988:                              ;   in Loop: Header=BB6_938 Depth=3
	s_and_saveexec_b64 s[42:43], s[56:57]
	s_xor_b64 s[42:43], exec, s[42:43]
	s_cbranch_execz .LBB6_1003
; %bb.989:                              ;   in Loop: Header=BB6_938 Depth=3
	s_and_saveexec_b64 s[76:77], s[16:17]
	s_cbranch_execz .LBB6_1002
; %bb.990:                              ;   in Loop: Header=BB6_938 Depth=3
	s_mov_b64 s[88:89], exec
	v_mbcnt_lo_u32_b32 v0, s88, 0
	v_mbcnt_hi_u32_b32 v0, s89, v0
	v_cmp_eq_u32_e32 vcc, 0, v0
	;;#ASMSTART
	s_waitcnt lgkmcnt(0) vmcnt(0)
	;;#ASMEND
	s_and_saveexec_b64 s[78:79], vcc
	s_cbranch_execz .LBB6_992
; %bb.991:                              ;   in Loop: Header=BB6_938 Depth=3
	s_bcnt1_i32_b64 s88, s[88:89]
	v_mov_b32_e32 v0, s88
	v_mov_b32_e32 v1, v23
	s_waitcnt lgkmcnt(0)
	ds_add_u64 v0, v[0:1]
	s_trap 2
.LBB6_992:                              ;   in Loop: Header=BB6_938 Depth=3
	s_or_b64 exec, exec, s[78:79]
	s_trap 2
	ds_read_b64 v[0:1], v0
	s_waitcnt vmcnt(0) lgkmcnt(0)
	v_add_co_u32_e32 v12, vcc, v12, v49
	v_addc_co_u32_e32 v13, vcc, 0, v13, vcc
	v_cmp_lt_u64_e32 vcc, v[0:1], v[12:13]
	s_and_saveexec_b64 s[78:79], vcc
	s_cbranch_execz .LBB6_1001
; %bb.993:                              ;   in Loop: Header=BB6_938 Depth=3
	s_mov_b32 s34, 0
	s_mov_b64 s[88:89], 0
                                        ; implicit-def: $sgpr90_sgpr91
                                        ; implicit-def: $sgpr92_sgpr93
	s_branch .LBB6_995
.LBB6_994:                              ;   in Loop: Header=BB6_995 Depth=4
	s_or_b64 exec, exec, s[30:31]
	s_and_b64 s[94:95], exec, vcc
	s_or_b64 s[88:89], s[94:95], s[88:89]
	s_andn2_b64 s[90:91], s[90:91], exec
	s_and_b64 s[94:95], s[92:93], exec
	s_or_b64 s[90:91], s[90:91], s[94:95]
	s_andn2_b64 exec, exec, s[88:89]
	s_cbranch_execz .LBB6_999
.LBB6_995:                              ;   Parent Loop BB6_47 Depth=1
                                        ;     Parent Loop BB6_754 Depth=2
                                        ;       Parent Loop BB6_938 Depth=3
                                        ; =>      This Inner Loop Header: Depth=4
	s_add_i32 s34, s34, 1
	s_cmpk_lg_i32 s34, 0x2710
	s_cselect_b64 s[94:95], -1, 0
	s_and_b64 vcc, exec, s[94:95]
	s_cbranch_vccz .LBB6_997
; %bb.996:                              ;   in Loop: Header=BB6_995 Depth=4
	s_mov_b64 vcc, -1
	s_or_b64 s[92:93], s[92:93], exec
	s_and_saveexec_b64 s[30:31], s[94:95]
	s_cbranch_execz .LBB6_994
	s_branch .LBB6_998
.LBB6_997:                              ;   in Loop: Header=BB6_995 Depth=4
	s_trap 2
	ds_read_b64 v[0:1], v0
	s_andn2_b64 s[94:95], s[94:95], exec
	s_mov_b32 s34, 0
	s_waitcnt lgkmcnt(0)
	flat_load_dword v0, v[0:1] glc
	s_waitcnt vmcnt(0) lgkmcnt(0)
	buffer_wbinvl1_vol
	v_cmp_eq_u32_e32 vcc, 0, v0
	s_and_b64 vcc, vcc, exec
	s_or_b64 s[94:95], s[94:95], vcc
	s_mov_b64 vcc, -1
	s_or_b64 s[92:93], s[92:93], exec
	s_and_saveexec_b64 s[30:31], s[94:95]
	s_cbranch_execz .LBB6_994
.LBB6_998:                              ;   in Loop: Header=BB6_995 Depth=4
	s_sleep 1
	s_trap 2
	ds_read_b64 v[0:1], v0
	s_waitcnt lgkmcnt(0)
	s_andn2_b64 s[92:93], s[92:93], exec
	v_cmp_ge_u64_e32 vcc, v[0:1], v[12:13]
	s_orn2_b64 vcc, vcc, exec
	s_branch .LBB6_994
.LBB6_999:                              ;   in Loop: Header=BB6_938 Depth=3
	s_or_b64 exec, exec, s[88:89]
	s_and_saveexec_b64 s[88:89], s[90:91]
	s_xor_b64 s[88:89], exec, s[88:89]
	s_cbranch_execz .LBB6_1001
; %bb.1000:                             ;   in Loop: Header=BB6_938 Depth=3
	ds_write_b32 v0, v47
	s_trap 2
.LBB6_1001:                             ;   in Loop: Header=BB6_938 Depth=3
	s_or_b64 exec, exec, s[78:79]
	;;#ASMSTART
	s_wakeup
	;;#ASMEND
.LBB6_1002:                             ;   in Loop: Header=BB6_938 Depth=3
	s_or_b64 exec, exec, s[76:77]
.LBB6_1003:                             ;   in Loop: Header=BB6_938 Depth=3
	s_andn2_saveexec_b64 s[42:43], s[42:43]
	s_cbranch_execz .LBB6_1005
; %bb.1004:                             ;   in Loop: Header=BB6_938 Depth=3
	;;#ASMSTART
	s_waitcnt lgkmcnt(0) vmcnt(0)
	;;#ASMEND
	s_waitcnt vmcnt(0) lgkmcnt(0)
	s_barrier
.LBB6_1005:                             ;   in Loop: Header=BB6_938 Depth=3
	s_or_b64 exec, exec, s[42:43]
	v_and_b32_e32 v0, 16, v62
.LBB6_1006:                             ;   in Loop: Header=BB6_938 Depth=3
	s_or_b64 exec, exec, s[26:27]
	v_cmp_ne_u32_e32 vcc, 0, v0
	s_xor_b64 s[26:27], s[12:13], -1
	s_and_b64 s[42:43], vcc, s[26:27]
	s_and_saveexec_b64 s[26:27], s[42:43]
	s_cbranch_execz .LBB6_1008
; %bb.1007:                             ;   in Loop: Header=BB6_938 Depth=3
	s_waitcnt vmcnt(0)
	flat_store_dword v[30:31], v47
.LBB6_1008:                             ;   in Loop: Header=BB6_938 Depth=3
	s_or_b64 exec, exec, s[26:27]
	v_and_b32_e32 v0, 48, v62
	v_cmp_ne_u32_e32 vcc, 0, v0
	s_and_saveexec_b64 s[26:27], vcc
	s_cbranch_execz .LBB6_937
; %bb.1009:                             ;   in Loop: Header=BB6_938 Depth=3
	v_mov_b32_e32 v0, v54
	v_mov_b32_e32 v1, v55
	v_add_co_u32_e32 v0, vcc, 2, v0
	v_addc_co_u32_e32 v1, vcc, 0, v1, vcc
	v_mov_b32_e32 v55, v1
	v_mov_b32_e32 v54, v0
	flat_store_dwordx2 v[60:61], v[0:1]
	s_branch .LBB6_937
.LBB6_1010:                             ;   in Loop: Header=BB6_754 Depth=2
	s_or_b64 exec, exec, s[76:77]
	s_or_b64 exec, exec, s[42:43]
	v_cmp_gt_i32_e32 vcc, 2, v0
	s_and_saveexec_b64 s[28:29], vcc
	s_cbranch_execnz .LBB6_936
.LBB6_1011:                             ;   in Loop: Header=BB6_754 Depth=2
	s_or_b64 exec, exec, s[28:29]
	s_add_i32 s26, s75, 1
	s_cmp_eq_u32 s75, s82
	s_cbranch_scc0 .LBB6_1013
	s_branch .LBB6_1014
.LBB6_1012:                             ;   in Loop: Header=BB6_754 Depth=2
	s_or_b64 exec, exec, s[40:41]
	s_or_b64 exec, exec, s[28:29]
	s_add_i32 s26, s75, 1
	s_cmp_eq_u32 s75, s82
	s_cbranch_scc1 .LBB6_1014
.LBB6_1013:                             ;   in Loop: Header=BB6_754 Depth=2
	s_mov_b32 s75, s26
	s_branch .LBB6_754
.LBB6_1014:                             ;   in Loop: Header=BB6_47 Depth=1
	v_mov_b32_e32 v50, v54
	v_mov_b32_e32 v51, v55
.LBB6_1015:                             ;   in Loop: Header=BB6_47 Depth=1
	buffer_load_dword v2, off, s[0:3], s33 offset:192 ; 4-byte Folded Reload
	buffer_load_dword v3, off, s[0:3], s33 offset:196 ; 4-byte Folded Reload
	s_waitcnt vmcnt(0)
	v_mov_b32_e32 v8, 0
	v_mul_lo_u32 v1, v2, s84
	v_mul_lo_u32 v0, v3, s83
	v_mad_u64_u32 v[9:10], s[26:27], v2, s83, 0
	v_add3_u32 v10, v10, v1, v0
	buffer_load_dword v0, off, s[0:3], s33 offset:184 ; 4-byte Folded Reload
	buffer_load_dword v1, off, s[0:3], s33 offset:188 ; 4-byte Folded Reload
	s_waitcnt vmcnt(0)
	v_sub_co_u32_e32 v0, vcc, v0, v9
	v_subb_co_u32_e32 v1, vcc, v1, v10, vcc
	v_cmp_lt_i64_e32 vcc, v[2:3], v[0:1]
	v_cndmask_b32_e32 v1, v0, v2, vcc
	v_max_i32_e32 v3, 0, v1
	v_add_u32_e32 v2, 31, v3
	v_lshrrev_b32_e32 v2, 1, v2
	v_and_b32_e32 v2, 0x3ffffff0, v2
	v_cmp_lt_i32_e32 vcc, 0, v1
	v_mov_b32_e32 v0, 0
	v_max_i32_e32 v54, s81, v2
	s_and_b64 s[26:27], s[72:73], vcc
	s_and_saveexec_b64 s[28:29], s[26:27]
	s_cbranch_execz .LBB6_1156
; %bb.1016:                             ;   in Loop: Header=BB6_47 Depth=1
	buffer_load_dword v0, off, s[0:3], s33 offset:112 ; 4-byte Folded Reload
	buffer_load_dword v1, off, s[0:3], s33 offset:116 ; 4-byte Folded Reload
	s_mov_b32 s75, 1
	s_mov_b64 s[42:43], -1
	v_mov_b32_e32 v8, 0
	s_mov_b64 s[40:41], 0
	s_waitcnt vmcnt(0)
	v_add_co_u32_e32 v0, vcc, v9, v0
	v_addc_co_u32_e32 v1, vcc, v10, v1, vcc
	v_lshlrev_b64 v[10:11], 2, v[0:1]
	buffer_store_dword v10, off, s[0:3], s33 offset:112 ; 4-byte Folded Spill
	s_nop 0
	buffer_store_dword v11, off, s[0:3], s33 offset:116 ; 4-byte Folded Spill
	s_branch .LBB6_1018
.LBB6_1017:                             ;   in Loop: Header=BB6_1018 Depth=2
	s_or_b64 exec, exec, s[26:27]
	v_add_u32_e32 v8, v54, v8
	v_cmp_ge_i32_e32 vcc, v8, v3
	s_xor_b64 s[26:27], s[42:43], -1
	s_or_b64 s[26:27], s[26:27], vcc
	s_and_b64 s[26:27], exec, s[26:27]
	s_or_b64 s[40:41], s[26:27], s[40:41]
	s_mov_b64 s[42:43], 0
	v_mov_b32_e32 v0, s75
	s_mov_b32 s75, 2
	s_andn2_b64 exec, exec, s[40:41]
	s_cbranch_execz .LBB6_1155
.LBB6_1018:                             ;   Parent Loop BB6_47 Depth=1
                                        ; =>  This Loop Header: Depth=2
                                        ;       Child Loop BB6_1026 Depth 3
                                        ;       Child Loop BB6_1050 Depth 3
	;; [unrolled: 1-line block ×9, first 2 shown]
	s_and_saveexec_b64 s[26:27], s[4:5]
	s_cbranch_execz .LBB6_1020
; %bb.1019:                             ;   in Loop: Header=BB6_1018 Depth=2
	s_trap 2
	ds_read_b128 v[4:7], v0
	v_ashrrev_i32_e32 v9, 31, v8
	v_lshlrev_b64 v[0:1], 2, v[8:9]
	s_waitcnt vmcnt(0) lgkmcnt(0)
	v_add_co_u32_e32 v2, vcc, v4, v10
	v_addc_co_u32_e32 v5, vcc, v5, v11, vcc
	v_add_co_u32_e32 v4, vcc, v2, v0
	v_addc_co_u32_e32 v5, vcc, v5, v1, vcc
	v_add_co_u32_e32 v2, vcc, v6, v10
	ds_write_b64 v0, v[4:5]
	v_addc_co_u32_e32 v4, vcc, v7, v11, vcc
	v_add_co_u32_e32 v0, vcc, v2, v0
	v_addc_co_u32_e32 v1, vcc, v4, v1, vcc
	v_cmp_ne_u64_e32 vcc, 0, v[6:7]
	v_cndmask_b32_e32 v1, 0, v1, vcc
	v_cndmask_b32_e32 v0, 0, v0, vcc
	ds_write_b64 v0, v[0:1]
.LBB6_1020:                             ;   in Loop: Header=BB6_1018 Depth=2
	s_or_b64 exec, exec, s[26:27]
	v_and_b32_e32 v0, 4, v62
	v_cmp_ne_u32_e32 vcc, 0, v0
	s_and_saveexec_b64 s[76:77], vcc
	s_cbranch_execz .LBB6_1042
; %bb.1021:                             ;   in Loop: Header=BB6_1018 Depth=2
	s_waitcnt vmcnt(0)
	v_add_co_u32_e32 v38, vcc, 2, v50
	v_addc_co_u32_e32 v39, vcc, 0, v51, vcc
	s_waitcnt lgkmcnt(0)
	v_cmp_lt_u64_e32 vcc, v[26:27], v[38:39]
	s_and_saveexec_b64 s[78:79], vcc
	s_cbranch_execz .LBB6_1033
; %bb.1022:                             ;   in Loop: Header=BB6_1018 Depth=2
	v_and_b32_e32 v0, 64, v62
	s_mov_b32 s50, 0
	v_cmp_eq_u32_e32 vcc, 0, v0
	s_mov_b64 s[88:89], 0
                                        ; implicit-def: $sgpr90_sgpr91
                                        ; implicit-def: $sgpr92_sgpr93
                                        ; implicit-def: $sgpr94_sgpr95
	s_branch .LBB6_1026
.LBB6_1023:                             ;   in Loop: Header=BB6_1026 Depth=3
	s_waitcnt vmcnt(0) lgkmcnt(0)
	v_cmp_ge_u64_e64 s[26:27], v[26:27], v[38:39]
	s_or_b64 s[36:37], s[36:37], exec
	s_orn2_b64 s[34:35], s[26:27], exec
.LBB6_1024:                             ;   in Loop: Header=BB6_1026 Depth=3
	s_or_b64 exec, exec, s[48:49]
	s_andn2_b64 s[26:27], s[94:95], exec
	s_and_b64 s[94:95], s[36:37], exec
	s_or_b64 s[94:95], s[26:27], s[94:95]
	s_andn2_b64 s[26:27], s[92:93], exec
	s_and_b64 s[92:93], s[34:35], exec
	s_or_b64 s[92:93], s[26:27], s[92:93]
.LBB6_1025:                             ;   in Loop: Header=BB6_1026 Depth=3
	s_or_b64 exec, exec, s[30:31]
	s_and_b64 s[26:27], exec, s[92:93]
	s_or_b64 s[88:89], s[26:27], s[88:89]
	s_andn2_b64 s[26:27], s[90:91], exec
	s_and_b64 s[90:91], s[94:95], exec
	s_or_b64 s[90:91], s[26:27], s[90:91]
	s_andn2_b64 exec, exec, s[88:89]
	s_cbranch_execz .LBB6_1030
.LBB6_1026:                             ;   Parent Loop BB6_47 Depth=1
                                        ;     Parent Loop BB6_1018 Depth=2
                                        ; =>    This Inner Loop Header: Depth=3
	s_sleep 1
	s_waitcnt vmcnt(0) lgkmcnt(0)
	flat_load_dwordx2 v[26:27], v[60:61] glc
	s_or_b64 s[94:95], s[94:95], exec
	s_or_b64 s[92:93], s[92:93], exec
                                        ; implicit-def: $vgpr0
	s_and_saveexec_b64 s[30:31], vcc
	s_cbranch_execz .LBB6_1025
; %bb.1027:                             ;   in Loop: Header=BB6_1026 Depth=3
	s_cmpk_lt_i32 s50, 0x270f
	s_cselect_b64 s[38:39], -1, 0
	s_cmpk_gt_i32 s50, 0x270e
	s_mov_b64 s[34:35], -1
	s_cbranch_scc0 .LBB6_1029
; %bb.1028:                             ;   in Loop: Header=BB6_1026 Depth=3
	s_trap 2
	ds_read_b64 v[0:1], v0
	s_andn2_b64 s[38:39], s[38:39], exec
	s_mov_b32 s50, 0
	s_mov_b64 s[36:37], 0
	s_waitcnt vmcnt(0) lgkmcnt(0)
	flat_load_dword v0, v[0:1] glc
	s_waitcnt vmcnt(0) lgkmcnt(0)
	buffer_wbinvl1_vol
	v_cmp_eq_u32_e64 s[26:27], 0, v0
	s_and_b64 s[26:27], s[26:27], exec
	s_or_b64 s[38:39], s[38:39], s[26:27]
	s_and_saveexec_b64 s[48:49], s[38:39]
	s_cbranch_execz .LBB6_1024
	s_branch .LBB6_1023
.LBB6_1029:                             ;   in Loop: Header=BB6_1026 Depth=3
	s_add_i32 s50, s50, 1
	s_mov_b64 s[36:37], -1
                                        ; implicit-def: $vgpr0
	s_and_saveexec_b64 s[48:49], s[38:39]
	s_cbranch_execz .LBB6_1024
	s_branch .LBB6_1023
.LBB6_1030:                             ;   in Loop: Header=BB6_1018 Depth=2
	s_or_b64 exec, exec, s[88:89]
	s_xor_b64 s[26:27], s[90:91], -1
	s_and_saveexec_b64 s[88:89], s[26:27]
	s_xor_b64 s[26:27], exec, s[88:89]
	s_cbranch_execz .LBB6_1032
; %bb.1031:                             ;   in Loop: Header=BB6_1018 Depth=2
	v_or_b32_e32 v62, 64, v62
	s_waitcnt lgkmcnt(0)
	ds_write_b32 v0, v0
	s_trap 2
.LBB6_1032:                             ;   in Loop: Header=BB6_1018 Depth=2
	s_or_b64 exec, exec, s[26:27]
.LBB6_1033:                             ;   in Loop: Header=BB6_1018 Depth=2
	s_or_b64 exec, exec, s[78:79]
	v_and_b32_e32 v0, 0x100, v62
	v_cmp_ne_u32_e32 vcc, 0, v0
	v_and_b32_e32 v0, 7, v50
	s_mov_b64 s[26:27], -1
	;;#ASMSTART
	s_wakeup
	;;#ASMEND
                                        ; implicit-def: $vgpr36_vgpr37
	s_and_saveexec_b64 s[78:79], vcc
	s_cbranch_execz .LBB6_1037
; %bb.1034:                             ;   in Loop: Header=BB6_1018 Depth=2
	v_mad_u64_u32 v[48:49], s[26:27], v0, 24, v[19:20]
                                        ; implicit-def: $vgpr36_vgpr37
	flat_load_dword v1, v[48:49]
	s_waitcnt vmcnt(0) lgkmcnt(0)
	v_cmp_ne_u32_e32 vcc, 1, v1
	v_cmp_eq_u32_e64 s[26:27], 1, v1
	s_and_saveexec_b64 s[88:89], s[26:27]
	s_cbranch_execz .LBB6_1036
; %bb.1035:                             ;   in Loop: Header=BB6_1018 Depth=2
	flat_load_dword v1, v[48:49] offset:4 glc
	s_waitcnt vmcnt(0) lgkmcnt(0)
	v_ashrrev_i32_e32 v2, 31, v1
	v_lshrrev_b64 v[36:37], 2, v[1:2]
.LBB6_1036:                             ;   in Loop: Header=BB6_1018 Depth=2
	s_or_b64 exec, exec, s[88:89]
	buffer_load_dword v49, off, s[0:3], s33 offset:84 ; 4-byte Folded Reload
	buffer_load_dword v18, off, s[0:3], s33 offset:128 ; 4-byte Folded Reload
	;; [unrolled: 1-line block ×3, first 2 shown]
	s_orn2_b64 s[26:27], vcc, exec
.LBB6_1037:                             ;   in Loop: Header=BB6_1018 Depth=2
	s_or_b64 exec, exec, s[78:79]
	s_and_saveexec_b64 s[78:79], s[26:27]
; %bb.1038:                             ;   in Loop: Header=BB6_1018 Depth=2
	v_mad_i64_i32 v[36:37], s[26:27], v0, v58, 0
; %bb.1039:                             ;   in Loop: Header=BB6_1018 Depth=2
	s_or_b64 exec, exec, s[78:79]
	v_lshlrev_b64 v[0:1], 2, v[36:37]
	v_add_co_u32_e32 v0, vcc, v28, v0
	v_addc_co_u32_e32 v1, vcc, v29, v1, vcc
	ds_write_b64 v0, v[0:1] offset:720
	v_and_b32_e32 v0, 0x2000, v62
	v_cmp_ne_u32_e32 vcc, 0, v0
	s_and_saveexec_b64 s[26:27], vcc
	s_cbranch_execz .LBB6_1041
; %bb.1040:                             ;   in Loop: Header=BB6_1018 Depth=2
	ds_read_b64 v[0:1], v0 offset:872
	s_waitcnt lgkmcnt(0)
	v_add_co_u32_e32 v0, vcc, 1, v0
	v_addc_co_u32_e32 v1, vcc, 0, v1, vcc
	ds_write_b64 v0, v[0:1] offset:872
.LBB6_1041:                             ;   in Loop: Header=BB6_1018 Depth=2
	s_or_b64 exec, exec, s[26:27]
	v_mov_b32_e32 v51, v39
	v_mov_b32_e32 v50, v38
.LBB6_1042:                             ;   in Loop: Header=BB6_1018 Depth=2
	s_or_b64 exec, exec, s[76:77]
	s_and_saveexec_b64 s[26:27], s[10:11]
	s_cbranch_execz .LBB6_1061
; %bb.1043:                             ;   in Loop: Header=BB6_1018 Depth=2
	s_and_saveexec_b64 s[76:77], s[56:57]
	s_xor_b64 s[76:77], exec, s[76:77]
	s_cbranch_execz .LBB6_1058
; %bb.1044:                             ;   in Loop: Header=BB6_1018 Depth=2
	s_and_saveexec_b64 s[78:79], s[16:17]
	s_cbranch_execz .LBB6_1057
; %bb.1045:                             ;   in Loop: Header=BB6_1018 Depth=2
	s_mov_b64 s[90:91], exec
	v_mbcnt_lo_u32_b32 v0, s90, 0
	v_mbcnt_hi_u32_b32 v0, s91, v0
	v_cmp_eq_u32_e32 vcc, 0, v0
	s_waitcnt vmcnt(0) lgkmcnt(0)
	buffer_wbinvl1_vol
	s_and_saveexec_b64 s[88:89], vcc
	s_cbranch_execz .LBB6_1047
; %bb.1046:                             ;   in Loop: Header=BB6_1018 Depth=2
	s_bcnt1_i32_b64 s90, s[90:91]
	v_mov_b32_e32 v0, s90
	v_mov_b32_e32 v1, v23
	ds_add_u64 v0, v[0:1]
	s_trap 2
.LBB6_1047:                             ;   in Loop: Header=BB6_1018 Depth=2
	s_or_b64 exec, exec, s[88:89]
	s_trap 2
	ds_read_b64 v[0:1], v0
	s_waitcnt lgkmcnt(0)
	v_add_co_u32_e32 v12, vcc, v12, v49
	v_addc_co_u32_e32 v13, vcc, 0, v13, vcc
	v_cmp_lt_u64_e32 vcc, v[0:1], v[12:13]
	s_and_saveexec_b64 s[88:89], vcc
	s_cbranch_execz .LBB6_1056
; %bb.1048:                             ;   in Loop: Header=BB6_1018 Depth=2
	s_mov_b32 s36, 0
	s_mov_b64 s[90:91], 0
                                        ; implicit-def: $sgpr92_sgpr93
                                        ; implicit-def: $sgpr94_sgpr95
	s_branch .LBB6_1050
.LBB6_1049:                             ;   in Loop: Header=BB6_1050 Depth=3
	s_or_b64 exec, exec, s[34:35]
	s_and_b64 vcc, exec, vcc
	s_or_b64 s[90:91], vcc, s[90:91]
	s_andn2_b64 s[92:93], s[92:93], exec
	s_and_b64 vcc, s[94:95], exec
	s_or_b64 s[92:93], s[92:93], vcc
	s_andn2_b64 exec, exec, s[90:91]
	s_cbranch_execz .LBB6_1054
.LBB6_1050:                             ;   Parent Loop BB6_47 Depth=1
                                        ;     Parent Loop BB6_1018 Depth=2
                                        ; =>    This Inner Loop Header: Depth=3
	s_add_i32 s36, s36, 1
	s_cmpk_lg_i32 s36, 0x2710
	s_cselect_b64 s[30:31], -1, 0
	s_and_b64 vcc, exec, s[30:31]
	s_cbranch_vccz .LBB6_1052
; %bb.1051:                             ;   in Loop: Header=BB6_1050 Depth=3
	s_mov_b64 vcc, -1
	s_or_b64 s[94:95], s[94:95], exec
	s_and_saveexec_b64 s[34:35], s[30:31]
	s_cbranch_execz .LBB6_1049
	s_branch .LBB6_1053
.LBB6_1052:                             ;   in Loop: Header=BB6_1050 Depth=3
	s_trap 2
	ds_read_b64 v[0:1], v0
	s_andn2_b64 s[30:31], s[30:31], exec
	s_mov_b32 s36, 0
	s_waitcnt lgkmcnt(0)
	flat_load_dword v0, v[0:1] glc
	s_waitcnt vmcnt(0) lgkmcnt(0)
	buffer_wbinvl1_vol
	v_cmp_eq_u32_e32 vcc, 0, v0
	s_and_b64 vcc, vcc, exec
	s_or_b64 s[30:31], s[30:31], vcc
	s_mov_b64 vcc, -1
	s_or_b64 s[94:95], s[94:95], exec
	s_and_saveexec_b64 s[34:35], s[30:31]
	s_cbranch_execz .LBB6_1049
.LBB6_1053:                             ;   in Loop: Header=BB6_1050 Depth=3
	s_sleep 1
	s_trap 2
	ds_read_b64 v[0:1], v0
	s_waitcnt lgkmcnt(0)
	s_andn2_b64 s[94:95], s[94:95], exec
	v_cmp_ge_u64_e32 vcc, v[0:1], v[12:13]
	s_orn2_b64 vcc, vcc, exec
	s_branch .LBB6_1049
.LBB6_1054:                             ;   in Loop: Header=BB6_1018 Depth=2
	s_or_b64 exec, exec, s[90:91]
	s_and_saveexec_b64 s[90:91], s[92:93]
	s_xor_b64 s[90:91], exec, s[90:91]
	s_cbranch_execz .LBB6_1056
; %bb.1055:                             ;   in Loop: Header=BB6_1018 Depth=2
	ds_write_b32 v0, v47
	s_trap 2
.LBB6_1056:                             ;   in Loop: Header=BB6_1018 Depth=2
	s_or_b64 exec, exec, s[88:89]
	;;#ASMSTART
	s_wakeup
	;;#ASMEND
.LBB6_1057:                             ;   in Loop: Header=BB6_1018 Depth=2
	s_or_b64 exec, exec, s[78:79]
.LBB6_1058:                             ;   in Loop: Header=BB6_1018 Depth=2
	s_andn2_saveexec_b64 s[76:77], s[76:77]
	s_cbranch_execz .LBB6_1060
; %bb.1059:                             ;   in Loop: Header=BB6_1018 Depth=2
	s_waitcnt vmcnt(0) lgkmcnt(0)
	buffer_wbinvl1_vol
	s_barrier
.LBB6_1060:                             ;   in Loop: Header=BB6_1018 Depth=2
	s_or_b64 exec, exec, s[76:77]
.LBB6_1061:                             ;   in Loop: Header=BB6_1018 Depth=2
	s_or_b64 exec, exec, s[26:27]
	s_trap 2
	ds_read_b32 v0, v0
	v_and_b32_e32 v1, 0x4000, v62
	v_cmp_ne_u32_e32 vcc, 0, v1
	s_xor_b64 s[26:27], s[6:7], -1
	s_and_b64 s[76:77], s[26:27], vcc
	s_and_saveexec_b64 s[26:27], s[76:77]
	s_cbranch_execz .LBB6_1080
; %bb.1062:                             ;   in Loop: Header=BB6_1018 Depth=2
	s_and_saveexec_b64 s[76:77], s[56:57]
	s_xor_b64 s[76:77], exec, s[76:77]
	s_cbranch_execz .LBB6_1077
; %bb.1063:                             ;   in Loop: Header=BB6_1018 Depth=2
	s_and_saveexec_b64 s[78:79], s[16:17]
	s_cbranch_execz .LBB6_1076
; %bb.1064:                             ;   in Loop: Header=BB6_1018 Depth=2
	s_mov_b64 s[90:91], exec
	v_mbcnt_lo_u32_b32 v1, s90, 0
	v_mbcnt_hi_u32_b32 v1, s91, v1
	v_cmp_eq_u32_e32 vcc, 0, v1
	s_waitcnt vmcnt(0) lgkmcnt(0)
	buffer_wbinvl1_vol
	s_and_saveexec_b64 s[88:89], vcc
	s_cbranch_execz .LBB6_1066
; %bb.1065:                             ;   in Loop: Header=BB6_1018 Depth=2
	s_bcnt1_i32_b64 s90, s[90:91]
	v_mov_b32_e32 v1, s90
	v_mov_b32_e32 v2, v23
	ds_add_u64 v0, v[1:2]
	s_trap 2
.LBB6_1066:                             ;   in Loop: Header=BB6_1018 Depth=2
	s_or_b64 exec, exec, s[88:89]
	s_trap 2
	ds_read_b64 v[1:2], v0
	s_waitcnt lgkmcnt(0)
	v_add_co_u32_e32 v12, vcc, v12, v49
	v_addc_co_u32_e32 v13, vcc, 0, v13, vcc
	v_cmp_lt_u64_e32 vcc, v[1:2], v[12:13]
	s_and_saveexec_b64 s[88:89], vcc
	s_cbranch_execz .LBB6_1075
; %bb.1067:                             ;   in Loop: Header=BB6_1018 Depth=2
	s_mov_b32 s36, 0
	s_mov_b64 s[90:91], 0
                                        ; implicit-def: $sgpr92_sgpr93
                                        ; implicit-def: $sgpr94_sgpr95
	s_branch .LBB6_1069
.LBB6_1068:                             ;   in Loop: Header=BB6_1069 Depth=3
	s_or_b64 exec, exec, s[34:35]
	s_and_b64 vcc, exec, vcc
	s_or_b64 s[90:91], vcc, s[90:91]
	s_andn2_b64 s[92:93], s[92:93], exec
	s_and_b64 vcc, s[94:95], exec
	s_or_b64 s[92:93], s[92:93], vcc
	s_andn2_b64 exec, exec, s[90:91]
	s_cbranch_execz .LBB6_1073
.LBB6_1069:                             ;   Parent Loop BB6_47 Depth=1
                                        ;     Parent Loop BB6_1018 Depth=2
                                        ; =>    This Inner Loop Header: Depth=3
	s_add_i32 s36, s36, 1
	s_cmpk_lg_i32 s36, 0x2710
	s_cselect_b64 s[30:31], -1, 0
	s_and_b64 vcc, exec, s[30:31]
	s_cbranch_vccz .LBB6_1071
; %bb.1070:                             ;   in Loop: Header=BB6_1069 Depth=3
	s_mov_b64 vcc, -1
	s_or_b64 s[94:95], s[94:95], exec
	s_and_saveexec_b64 s[34:35], s[30:31]
	s_cbranch_execz .LBB6_1068
	s_branch .LBB6_1072
.LBB6_1071:                             ;   in Loop: Header=BB6_1069 Depth=3
	s_trap 2
	ds_read_b64 v[1:2], v0
	s_andn2_b64 s[30:31], s[30:31], exec
	s_mov_b32 s36, 0
	s_waitcnt lgkmcnt(0)
	flat_load_dword v1, v[1:2] glc
	s_waitcnt vmcnt(0) lgkmcnt(0)
	buffer_wbinvl1_vol
	v_cmp_eq_u32_e32 vcc, 0, v1
	s_and_b64 vcc, vcc, exec
	s_or_b64 s[30:31], s[30:31], vcc
	s_mov_b64 vcc, -1
	s_or_b64 s[94:95], s[94:95], exec
	s_and_saveexec_b64 s[34:35], s[30:31]
	s_cbranch_execz .LBB6_1068
.LBB6_1072:                             ;   in Loop: Header=BB6_1069 Depth=3
	s_sleep 1
	s_trap 2
	ds_read_b64 v[1:2], v0
	s_waitcnt lgkmcnt(0)
	s_andn2_b64 s[94:95], s[94:95], exec
	v_cmp_ge_u64_e32 vcc, v[1:2], v[12:13]
	s_orn2_b64 vcc, vcc, exec
	s_branch .LBB6_1068
.LBB6_1073:                             ;   in Loop: Header=BB6_1018 Depth=2
	s_or_b64 exec, exec, s[90:91]
	s_and_saveexec_b64 s[90:91], s[92:93]
	s_xor_b64 s[90:91], exec, s[90:91]
	s_cbranch_execz .LBB6_1075
; %bb.1074:                             ;   in Loop: Header=BB6_1018 Depth=2
	ds_write_b32 v0, v47
	s_trap 2
.LBB6_1075:                             ;   in Loop: Header=BB6_1018 Depth=2
	s_or_b64 exec, exec, s[88:89]
	;;#ASMSTART
	s_wakeup
	;;#ASMEND
.LBB6_1076:                             ;   in Loop: Header=BB6_1018 Depth=2
	s_or_b64 exec, exec, s[78:79]
.LBB6_1077:                             ;   in Loop: Header=BB6_1018 Depth=2
	s_andn2_saveexec_b64 s[76:77], s[76:77]
	s_cbranch_execz .LBB6_1079
; %bb.1078:                             ;   in Loop: Header=BB6_1018 Depth=2
	s_waitcnt vmcnt(0) lgkmcnt(0)
	buffer_wbinvl1_vol
	s_barrier
.LBB6_1079:                             ;   in Loop: Header=BB6_1018 Depth=2
	s_or_b64 exec, exec, s[76:77]
.LBB6_1080:                             ;   in Loop: Header=BB6_1018 Depth=2
	s_or_b64 exec, exec, s[26:27]
	s_trap 2
	s_waitcnt lgkmcnt(0)
	ds_read_b64 v[38:39], v0
	v_sub_u32_e32 v1, v3, v8
	v_min_i32_e32 v54, v54, v1
	s_waitcnt lgkmcnt(0)
	v_cmp_eq_u64_e32 vcc, 0, v[38:39]
	s_cbranch_vccnz .LBB6_1088
; %bb.1081:                             ;   in Loop: Header=BB6_1018 Depth=2
	s_trap 2
	s_waitcnt vmcnt(0)
	ds_read_b64 v[48:49], v0
	s_waitcnt lgkmcnt(0)
	v_cmp_eq_u64_e32 vcc, 0, v[48:49]
	s_cbranch_vccnz .LBB6_1093
; %bb.1082:                             ;   in Loop: Header=BB6_1018 Depth=2
	s_mov_b64 s[26:27], -1
	s_and_saveexec_b64 s[76:77], s[20:21]
	s_cbranch_execz .LBB6_1084
; %bb.1083:                             ;   in Loop: Header=BB6_1018 Depth=2
	ds_read_b32 v1, v0 offset:720
	s_waitcnt lgkmcnt(0)
	v_and_b32_e32 v1, 15, v1
	v_cmp_eq_u32_e32 vcc, 0, v1
	s_orn2_b64 s[26:27], vcc, exec
.LBB6_1084:                             ;   in Loop: Header=BB6_1018 Depth=2
	s_or_b64 exec, exec, s[76:77]
	s_and_saveexec_b64 s[76:77], s[18:19]
	s_cbranch_execz .LBB6_1086
; %bb.1085:                             ;   in Loop: Header=BB6_1018 Depth=2
	ds_read_b32 v1, v0 offset:784
	s_waitcnt lgkmcnt(0)
	v_and_b32_e32 v1, 15, v1
	v_cmp_eq_u32_e32 vcc, 0, v1
	s_and_b64 s[78:79], s[26:27], vcc
	s_andn2_b64 s[26:27], s[26:27], exec
	s_and_b64 s[78:79], s[78:79], exec
	s_or_b64 s[26:27], s[26:27], s[78:79]
.LBB6_1086:                             ;   in Loop: Header=BB6_1018 Depth=2
	s_or_b64 exec, exec, s[76:77]
	v_cmp_eq_u32_e32 vcc, 0, v0
	s_xor_b64 s[26:27], s[26:27], -1
	v_cndmask_b32_e32 v0, 0, v54, vcc
	v_cndmask_b32_e64 v1, 0, 1, s[26:27]
	v_lshlrev_b32_e32 v9, 2, v0
	s_mov_b64 s[78:79], -1
	v_cmp_ne_u32_e32 vcc, 0, v1
	v_mov_b32_e32 v34, 0
	buffer_store_dword v50, off, s[0:3], s33 offset:120 ; 4-byte Folded Spill
	s_nop 0
	buffer_store_dword v51, off, s[0:3], s33 offset:124 ; 4-byte Folded Spill
	s_cbranch_vccz .LBB6_1094
; %bb.1087:                             ;   in Loop: Header=BB6_1018 Depth=2
	buffer_load_dword v50, off, s[0:3], s33 offset:80 ; 4-byte Folded Reload
	v_mov_b32_e32 v35, v32
	s_and_saveexec_b64 s[26:27], s[78:79]
	s_cbranch_execnz .LBB6_1107
	s_branch .LBB6_1115
.LBB6_1088:                             ;   in Loop: Header=BB6_1018 Depth=2
	s_mov_b64 s[26:27], 0
	s_and_saveexec_b64 s[76:77], s[10:11]
	s_cbranch_execnz .LBB6_1116
.LBB6_1089:                             ;   in Loop: Header=BB6_1018 Depth=2
	s_or_b64 exec, exec, s[76:77]
	s_and_saveexec_b64 s[76:77], s[24:25]
	s_xor_b64 s[76:77], exec, s[76:77]
	s_cbranch_execz .LBB6_1134
.LBB6_1090:                             ;   in Loop: Header=BB6_1018 Depth=2
	v_and_b32_e32 v0, 16, v62
	v_cmp_ne_u32_e32 vcc, 0, v0
	s_and_b64 s[78:79], vcc, s[26:27]
	s_and_saveexec_b64 s[26:27], s[78:79]
	s_cbranch_execz .LBB6_1092
; %bb.1091:                             ;   in Loop: Header=BB6_1018 Depth=2
	s_waitcnt vmcnt(0) lgkmcnt(0)
	buffer_wbinvl1_vol
.LBB6_1092:                             ;   in Loop: Header=BB6_1018 Depth=2
	s_or_b64 exec, exec, s[26:27]
	s_andn2_saveexec_b64 s[26:27], s[76:77]
	s_cbranch_execz .LBB6_1153
	s_branch .LBB6_1135
.LBB6_1093:                             ;   in Loop: Header=BB6_1018 Depth=2
	buffer_load_dword v49, off, s[0:3], s33 offset:84 ; 4-byte Folded Reload
	buffer_load_dword v18, off, s[0:3], s33 offset:128 ; 4-byte Folded Reload
	;; [unrolled: 1-line block ×3, first 2 shown]
	s_mov_b64 s[26:27], 0
	s_and_saveexec_b64 s[76:77], s[10:11]
	s_cbranch_execnz .LBB6_1116
	s_branch .LBB6_1089
.LBB6_1094:                             ;   in Loop: Header=BB6_1018 Depth=2
	v_ashrrev_i32_e32 v1, 31, v9
	v_lshrrev_b32_e32 v1, 19, v1
	v_add_u32_e32 v1, v9, v1
	v_ashrrev_i32_e32 v14, 13, v1
	buffer_load_dword v1, off, s[0:3], s33 offset:80 ; 4-byte Folded Reload
	s_waitcnt vmcnt(0)
	v_sub_u32_e32 v55, v14, v1
	v_cmp_lt_i32_e32 vcc, 0, v55
	s_and_saveexec_b64 s[76:77], vcc
	s_cbranch_execz .LBB6_1098
; %bb.1095:                             ;   in Loop: Header=BB6_1018 Depth=2
	buffer_load_dword v36, off, s[0:3], s33 offset:84 ; 4-byte Folded Reload
	buffer_load_dword v37, off, s[0:3], s33 offset:128 ; 4-byte Folded Reload
	;; [unrolled: 1-line block ×3, first 2 shown]
	v_mov_b32_e32 v51, v49
	v_mov_b32_e32 v53, v39
	;; [unrolled: 1-line block ×3, first 2 shown]
	s_mov_b64 s[78:79], 0
	v_mov_b32_e32 v50, v48
	v_mov_b32_e32 v52, v38
.LBB6_1096:                             ;   Parent Loop BB6_47 Depth=1
                                        ;     Parent Loop BB6_1018 Depth=2
                                        ; =>    This Inner Loop Header: Depth=3
	s_waitcnt vmcnt(2)
	v_add_co_u32_e32 v1, vcc, v43, v52
	s_waitcnt vmcnt(0)
	v_addc_co_u32_e32 v2, vcc, v10, v53, vcc
	global_load_dwordx4 v[4:7], v[1:2], off glc slc
	global_load_dwordx4 v[15:18], v[1:2], off offset:1024 glc slc
	global_load_dwordx4 v[19:22], v[1:2], off offset:2048 glc slc
	;; [unrolled: 1-line block ×3, first 2 shown]
	v_add_co_u32_e32 v1, vcc, s64, v1
	v_addc_co_u32_e32 v2, vcc, 0, v2, vcc
	global_load_dwordx4 v[32:35], v[1:2], off glc slc
	global_load_dwordx4 v[40:43], v[1:2], off offset:1024 glc slc
	global_load_dwordx4 v[44:47], v[1:2], off offset:2048 glc slc
	;; [unrolled: 1-line block ×3, first 2 shown]
	v_sub_u32_e32 v55, v55, v36
	buffer_load_dword v1, off, s[0:3], s33 offset:60 ; 4-byte Folded Reload
	v_cmp_gt_i32_e64 s[26:27], 1, v55
	s_or_b64 s[78:79], s[26:27], s[78:79]
	s_waitcnt vmcnt(0)
	v_add_co_u32_e32 v1, vcc, v1, v50
	v_addc_co_u32_e32 v2, vcc, v10, v51, vcc
	v_add_co_u32_e32 v52, vcc, v52, v37
	v_addc_co_u32_e32 v53, vcc, 0, v53, vcc
	;; [unrolled: 2-line block ×4, first 2 shown]
	global_store_dwordx4 v[1:2], v[4:7], off glc slc
	global_store_dwordx4 v[1:2], v[15:18], off offset:1024 glc slc
	global_store_dwordx4 v[1:2], v[19:22], off offset:2048 glc slc
	;; [unrolled: 1-line block ×3, first 2 shown]
	global_store_dwordx4 v[23:24], v[32:35], off glc slc
	global_store_dwordx4 v[23:24], v[40:43], off offset:1024 glc slc
	buffer_load_dword v43, off, s[0:3], s33 offset:60 ; 4-byte Folded Reload
	s_nop 0
	global_store_dwordx4 v[23:24], v[44:47], off offset:2048 glc slc
	global_store_dwordx4 v[23:24], v[56:59], off offset:3072 glc slc
	s_andn2_b64 exec, exec, s[78:79]
	s_cbranch_execnz .LBB6_1096
; %bb.1097:                             ;   in Loop: Header=BB6_1018 Depth=2
	s_or_b64 exec, exec, s[78:79]
	buffer_load_dword v32, off, s[0:3], s33 offset:220 ; 4-byte Folded Reload
	buffer_load_dword v19, off, s[0:3], s33 offset:144 ; 4-byte Folded Reload
	;; [unrolled: 1-line block ×10, first 2 shown]
	v_mov_b32_e32 v23, v25
	buffer_load_dword v59, off, s[0:3], s33 offset:204 ; 4-byte Folded Reload
	buffer_load_dword v24, off, s[0:3], s33 offset:88 ; 4-byte Folded Reload
	;; [unrolled: 1-line block ×8, first 2 shown]
	v_mov_b32_e32 v47, 1
.LBB6_1098:                             ;   in Loop: Header=BB6_1018 Depth=2
	s_or_b64 exec, exec, s[76:77]
	v_lshlrev_b32_e32 v14, 13, v14
	v_cmp_ne_u32_e32 vcc, v9, v14
	s_mov_b64 s[78:79], 0
	v_mov_b32_e32 v34, 0
                                        ; implicit-def: $vgpr35
                                        ; implicit-def: $vgpr50
	s_and_saveexec_b64 s[76:77], vcc
	s_cbranch_execz .LBB6_1106
; %bb.1099:                             ;   in Loop: Header=BB6_1018 Depth=2
	buffer_load_dword v4, off, s[0:3], s33 offset:180 ; 4-byte Folded Reload
	v_lshlrev_b32_e32 v2, 6, v55
	v_sub_u32_e32 v1, v9, v14
	s_waitcnt vmcnt(0)
	v_sub_u32_e32 v2, v4, v2
	v_ashrrev_i32_e32 v4, 31, v2
	v_lshrrev_b32_e32 v4, 26, v4
	v_add_u32_e32 v4, v2, v4
	v_ashrrev_i32_e32 v5, 6, v4
	v_and_b32_e32 v4, 0xffffffc0, v4
	v_sub_u32_e32 v51, v2, v4
	v_lshlrev_b32_e32 v2, 4, v51
	v_lshl_add_u32 v35, v5, 10, v2
	v_ashrrev_i32_e32 v2, 31, v1
	v_lshrrev_b32_e32 v2, 22, v2
	v_add_u32_e32 v2, v1, v2
	v_and_b32_e32 v52, 0xfffffc00, v2
	v_sub_u32_e32 v55, v1, v52
	v_ashrrev_i32_e32 v4, 10, v2
	v_cmp_lt_i32_e32 vcc, 15, v55
	v_sub_u32_e32 v34, v1, v35
	v_addc_co_u32_e64 v1, s[26:27], 0, v4, vcc
	v_sub_u32_e32 v53, v1, v5
	v_cmp_lt_i32_e64 s[26:27], 15, v34
	s_and_saveexec_b64 s[78:79], s[26:27]
	s_cbranch_execz .LBB6_1103
; %bb.1100:                             ;   in Loop: Header=BB6_1018 Depth=2
	buffer_load_dword v15, off, s[0:3], s33 offset:84 ; 4-byte Folded Reload
	v_add_u32_e32 v35, v35, v14
	v_ashrrev_i32_e32 v50, 31, v35
	s_mov_b64 s[88:89], 0
.LBB6_1101:                             ;   Parent Loop BB6_47 Depth=1
                                        ;     Parent Loop BB6_1018 Depth=2
                                        ; =>    This Inner Loop Header: Depth=3
	v_add_co_u32_e64 v1, s[26:27], v38, v35
	v_addc_co_u32_e64 v2, s[26:27], v39, v50, s[26:27]
	global_load_dwordx4 v[4:7], v[1:2], off glc slc
	v_add_co_u32_e64 v1, s[26:27], v48, v35
	v_addc_co_u32_e64 v2, s[26:27], v49, v50, s[26:27]
	v_add_co_u32_e64 v35, s[26:27], v35, v24
	v_sub_u32_e32 v34, v34, v24
	v_addc_co_u32_e64 v50, s[26:27], 0, v50, s[26:27]
	v_cmp_gt_i32_e64 s[26:27], 16, v34
	s_waitcnt vmcnt(1)
	v_sub_u32_e32 v53, v53, v15
	s_or_b64 s[88:89], s[26:27], s[88:89]
	s_waitcnt vmcnt(0)
	global_store_dwordx4 v[1:2], v[4:7], off glc slc
	s_andn2_b64 exec, exec, s[88:89]
	s_cbranch_execnz .LBB6_1101
; %bb.1102:                             ;   in Loop: Header=BB6_1018 Depth=2
	s_or_b64 exec, exec, s[88:89]
.LBB6_1103:                             ;   in Loop: Header=BB6_1018 Depth=2
	s_or_b64 exec, exec, s[78:79]
	v_and_b32_e32 v40, 12, v9
	v_cndmask_b32_e32 v9, v55, v40, vcc
	v_mov_b32_e32 v34, 0
	v_cmp_ne_u32_e64 s[26:27], 0, v9
	s_mov_b64 s[88:89], 0
                                        ; implicit-def: $vgpr35
                                        ; implicit-def: $vgpr50
	s_and_saveexec_b64 s[78:79], s[26:27]
	s_cbranch_execz .LBB6_1105
; %bb.1104:                             ;   in Loop: Header=BB6_1018 Depth=2
	v_sub_u32_e32 v1, v55, v40
	v_cndmask_b32_e32 v1, 0, v1, vcc
	v_add3_u32 v34, v52, v14, v1
	buffer_load_dword v1, off, s[0:3], s33 offset:84 ; 4-byte Folded Reload
	v_cmp_lt_i32_e32 vcc, 0, v53
	s_mov_b64 s[88:89], exec
	s_waitcnt vmcnt(0)
	v_cndmask_b32_e32 v1, 0, v1, vcc
	v_sub_u32_e32 v1, v1, v53
	v_lshl_add_u32 v35, v1, 6, v51
	v_ashrrev_i32_e32 v1, 31, v35
	v_lshrrev_b32_e32 v1, 26, v1
	v_add_u32_e32 v1, v35, v1
	v_ashrrev_i32_e32 v50, 6, v1
.LBB6_1105:                             ;   in Loop: Header=BB6_1018 Depth=2
	s_or_b64 exec, exec, s[78:79]
	s_and_b64 s[78:79], s[88:89], exec
.LBB6_1106:                             ;   in Loop: Header=BB6_1018 Depth=2
	s_or_b64 exec, exec, s[76:77]
	s_and_saveexec_b64 s[26:27], s[78:79]
	s_cbranch_execz .LBB6_1115
.LBB6_1107:                             ;   in Loop: Header=BB6_1018 Depth=2
	v_ashrrev_i32_e32 v1, 31, v9
	v_lshrrev_b32_e32 v1, 21, v1
	v_add_u32_e32 v1, v9, v1
	v_ashrrev_i32_e32 v40, 11, v1
	s_waitcnt vmcnt(0)
	v_sub_u32_e32 v14, v40, v50
	v_ashrrev_i32_e32 v1, 31, v35
	v_cmp_lt_i32_e32 vcc, 0, v14
	v_lshrrev_b32_e32 v55, 26, v1
	s_and_saveexec_b64 s[76:77], vcc
	s_cbranch_execz .LBB6_1111
; %bb.1108:                             ;   in Loop: Header=BB6_1018 Depth=2
	buffer_load_dword v21, off, s[0:3], s33 offset:84 ; 4-byte Folded Reload
	buffer_load_dword v22, off, s[0:3], s33 offset:160 ; 4-byte Folded Reload
	v_add_u32_e32 v1, v35, v55
	v_and_b32_e32 v1, 0x3fffffc0, v1
	v_sub_u32_e32 v1, v35, v1
	v_lshlrev_b32_e32 v1, 2, v1
	v_lshlrev_b32_e32 v2, 11, v50
	v_add3_u32 v41, v1, v34, v2
	v_mov_b32_e32 v51, v49
	v_mov_b32_e32 v53, v39
	v_ashrrev_i32_e32 v42, 31, v41
	s_mov_b64 s[78:79], 0
	v_mov_b32_e32 v50, v48
	v_mov_b32_e32 v52, v38
.LBB6_1109:                             ;   Parent Loop BB6_47 Depth=1
                                        ;     Parent Loop BB6_1018 Depth=2
                                        ; =>    This Inner Loop Header: Depth=3
	v_add_co_u32_e32 v1, vcc, v41, v52
	v_addc_co_u32_e32 v2, vcc, v42, v53, vcc
	flat_load_dword v4, v[1:2] glc slc
	flat_load_dword v5, v[1:2] offset:256 glc slc
	flat_load_dword v6, v[1:2] offset:512 glc slc
	;; [unrolled: 1-line block ×7, first 2 shown]
	v_add_co_u32_e32 v1, vcc, v41, v50
	v_addc_co_u32_e32 v2, vcc, v42, v51, vcc
	s_waitcnt vmcnt(0)
	v_add_co_u32_e32 v52, vcc, v52, v22
	v_addc_co_u32_e32 v53, vcc, 0, v53, vcc
	v_add_co_u32_e32 v50, vcc, v50, v22
	v_sub_u32_e32 v14, v14, v21
	v_addc_co_u32_e32 v51, vcc, 0, v51, vcc
	v_cmp_gt_i32_e32 vcc, 1, v14
	s_or_b64 s[78:79], vcc, s[78:79]
	s_waitcnt lgkmcnt(0)
	flat_store_dword v[1:2], v4 glc slc
	flat_store_dword v[1:2], v5 offset:256 glc slc
	flat_store_dword v[1:2], v6 offset:512 glc slc
	flat_store_dword v[1:2], v7 offset:768 glc slc
	flat_store_dword v[1:2], v15 offset:1024 glc slc
	flat_store_dword v[1:2], v16 offset:1280 glc slc
	flat_store_dword v[1:2], v17 offset:1536 glc slc
	flat_store_dword v[1:2], v18 offset:1792 glc slc
	s_andn2_b64 exec, exec, s[78:79]
	s_cbranch_execnz .LBB6_1109
; %bb.1110:                             ;   in Loop: Header=BB6_1018 Depth=2
	s_or_b64 exec, exec, s[78:79]
	buffer_load_dword v16, off, s[0:3], s33 offset:136 ; 4-byte Folded Reload
.LBB6_1111:                             ;   in Loop: Header=BB6_1018 Depth=2
	s_or_b64 exec, exec, s[76:77]
	v_lshlrev_b32_e32 v50, 11, v40
	v_cmp_ne_u32_e32 vcc, v9, v50
	s_and_b64 exec, exec, vcc
	s_cbranch_execz .LBB6_1115
; %bb.1112:                             ;   in Loop: Header=BB6_1018 Depth=2
	v_add_u32_e32 v1, v35, v55
	v_and_b32_e32 v1, 0xffffffc0, v1
	v_sub_u32_e32 v1, v35, v1
	v_lshlrev_b32_e32 v2, 6, v14
	v_sub_u32_e32 v1, v1, v2
	v_ashrrev_i32_e32 v2, 31, v1
	v_lshrrev_b32_e32 v2, 26, v2
	v_add_u32_e32 v2, v1, v2
	v_and_b32_e32 v4, 0x3fffffc0, v2
	v_sub_u32_e32 v1, v1, v4
	v_lshlrev_b32_e32 v2, 2, v2
	v_and_b32_e32 v2, 0xffffff00, v2
	v_lshlrev_b32_e32 v1, 2, v1
	v_add3_u32 v14, v2, v1, v50
	v_sub_u32_e32 v9, v9, v14
	v_cmp_lt_i32_e32 vcc, 3, v9
	s_and_b64 exec, exec, vcc
	s_cbranch_execz .LBB6_1115
; %bb.1113:                             ;   in Loop: Header=BB6_1018 Depth=2
	v_add_u32_e32 v14, v14, v34
	v_ashrrev_i32_e32 v34, 31, v14
	s_mov_b64 s[76:77], 0
.LBB6_1114:                             ;   Parent Loop BB6_47 Depth=1
                                        ;     Parent Loop BB6_1018 Depth=2
                                        ; =>    This Inner Loop Header: Depth=3
	v_add_co_u32_e32 v1, vcc, v38, v14
	v_addc_co_u32_e32 v2, vcc, v39, v34, vcc
	flat_load_dword v4, v[1:2] glc slc
	v_add_co_u32_e32 v1, vcc, v48, v14
	v_addc_co_u32_e32 v2, vcc, v49, v34, vcc
	s_waitcnt vmcnt(0)
	v_add_co_u32_e32 v14, vcc, v14, v16
	v_sub_u32_e32 v9, v9, v16
	v_addc_co_u32_e32 v34, vcc, 0, v34, vcc
	v_cmp_gt_i32_e32 vcc, 4, v9
	s_or_b64 s[76:77], vcc, s[76:77]
	s_waitcnt lgkmcnt(0)
	flat_store_dword v[1:2], v4 glc slc
	s_andn2_b64 exec, exec, s[76:77]
	s_cbranch_execnz .LBB6_1114
.LBB6_1115:                             ;   in Loop: Header=BB6_1018 Depth=2
	s_or_b64 exec, exec, s[26:27]
	buffer_load_dword v49, off, s[0:3], s33 offset:84 ; 4-byte Folded Reload
	buffer_load_dword v18, off, s[0:3], s33 offset:128 ; 4-byte Folded Reload
	;; [unrolled: 1-line block ×5, first 2 shown]
	v_cmp_lt_i32_e64 s[26:27], 0, v0
	s_and_saveexec_b64 s[76:77], s[10:11]
	s_cbranch_execz .LBB6_1089
.LBB6_1116:                             ;   in Loop: Header=BB6_1018 Depth=2
	s_and_saveexec_b64 s[78:79], s[56:57]
	s_xor_b64 s[78:79], exec, s[78:79]
	s_cbranch_execz .LBB6_1131
; %bb.1117:                             ;   in Loop: Header=BB6_1018 Depth=2
	s_and_saveexec_b64 s[88:89], s[16:17]
	s_cbranch_execz .LBB6_1130
; %bb.1118:                             ;   in Loop: Header=BB6_1018 Depth=2
	s_mov_b64 s[92:93], exec
	v_mbcnt_lo_u32_b32 v0, s92, 0
	v_mbcnt_hi_u32_b32 v0, s93, v0
	v_cmp_eq_u32_e32 vcc, 0, v0
	s_waitcnt vmcnt(0) lgkmcnt(0)
	buffer_wbinvl1_vol
	s_and_saveexec_b64 s[90:91], vcc
	s_cbranch_execz .LBB6_1120
; %bb.1119:                             ;   in Loop: Header=BB6_1018 Depth=2
	s_bcnt1_i32_b64 s92, s[92:93]
	v_mov_b32_e32 v0, s92
	v_mov_b32_e32 v1, v23
	ds_add_u64 v0, v[0:1]
	s_trap 2
.LBB6_1120:                             ;   in Loop: Header=BB6_1018 Depth=2
	s_or_b64 exec, exec, s[90:91]
	s_trap 2
	ds_read_b64 v[0:1], v0
	s_waitcnt lgkmcnt(0)
	v_add_co_u32_e32 v12, vcc, v12, v49
	v_addc_co_u32_e32 v13, vcc, 0, v13, vcc
	v_cmp_lt_u64_e32 vcc, v[0:1], v[12:13]
	s_and_saveexec_b64 s[90:91], vcc
	s_cbranch_execz .LBB6_1129
; %bb.1121:                             ;   in Loop: Header=BB6_1018 Depth=2
	s_mov_b32 s38, 0
	s_mov_b64 s[92:93], 0
                                        ; implicit-def: $sgpr94_sgpr95
                                        ; implicit-def: $sgpr30_sgpr31
	s_branch .LBB6_1123
.LBB6_1122:                             ;   in Loop: Header=BB6_1123 Depth=3
	s_or_b64 exec, exec, s[36:37]
	s_and_b64 vcc, exec, vcc
	s_or_b64 s[92:93], vcc, s[92:93]
	s_andn2_b64 s[94:95], s[94:95], exec
	s_and_b64 vcc, s[30:31], exec
	s_or_b64 s[94:95], s[94:95], vcc
	s_andn2_b64 exec, exec, s[92:93]
	s_cbranch_execz .LBB6_1127
.LBB6_1123:                             ;   Parent Loop BB6_47 Depth=1
                                        ;     Parent Loop BB6_1018 Depth=2
                                        ; =>    This Inner Loop Header: Depth=3
	s_add_i32 s38, s38, 1
	s_cmpk_lg_i32 s38, 0x2710
	s_cselect_b64 s[34:35], -1, 0
	s_and_b64 vcc, exec, s[34:35]
	s_cbranch_vccz .LBB6_1125
; %bb.1124:                             ;   in Loop: Header=BB6_1123 Depth=3
	s_mov_b64 vcc, -1
	s_or_b64 s[30:31], s[30:31], exec
	s_and_saveexec_b64 s[36:37], s[34:35]
	s_cbranch_execz .LBB6_1122
	s_branch .LBB6_1126
.LBB6_1125:                             ;   in Loop: Header=BB6_1123 Depth=3
	s_trap 2
	ds_read_b64 v[0:1], v0
	s_andn2_b64 s[34:35], s[34:35], exec
	s_mov_b32 s38, 0
	s_waitcnt lgkmcnt(0)
	flat_load_dword v0, v[0:1] glc
	s_waitcnt vmcnt(0) lgkmcnt(0)
	buffer_wbinvl1_vol
	v_cmp_eq_u32_e32 vcc, 0, v0
	s_and_b64 vcc, vcc, exec
	s_or_b64 s[34:35], s[34:35], vcc
	s_mov_b64 vcc, -1
	s_or_b64 s[30:31], s[30:31], exec
	s_and_saveexec_b64 s[36:37], s[34:35]
	s_cbranch_execz .LBB6_1122
.LBB6_1126:                             ;   in Loop: Header=BB6_1123 Depth=3
	s_sleep 1
	s_trap 2
	ds_read_b64 v[0:1], v0
	s_waitcnt lgkmcnt(0)
	s_andn2_b64 s[30:31], s[30:31], exec
	v_cmp_ge_u64_e32 vcc, v[0:1], v[12:13]
	s_orn2_b64 vcc, vcc, exec
	s_branch .LBB6_1122
.LBB6_1127:                             ;   in Loop: Header=BB6_1018 Depth=2
	s_or_b64 exec, exec, s[92:93]
	s_and_saveexec_b64 s[92:93], s[94:95]
	s_xor_b64 s[92:93], exec, s[92:93]
	s_cbranch_execz .LBB6_1129
; %bb.1128:                             ;   in Loop: Header=BB6_1018 Depth=2
	ds_write_b32 v0, v47
	s_trap 2
.LBB6_1129:                             ;   in Loop: Header=BB6_1018 Depth=2
	s_or_b64 exec, exec, s[90:91]
	;;#ASMSTART
	s_wakeup
	;;#ASMEND
.LBB6_1130:                             ;   in Loop: Header=BB6_1018 Depth=2
	s_or_b64 exec, exec, s[88:89]
.LBB6_1131:                             ;   in Loop: Header=BB6_1018 Depth=2
	s_andn2_saveexec_b64 s[78:79], s[78:79]
	s_cbranch_execz .LBB6_1133
; %bb.1132:                             ;   in Loop: Header=BB6_1018 Depth=2
	s_waitcnt vmcnt(0) lgkmcnt(0)
	buffer_wbinvl1_vol
	s_barrier
.LBB6_1133:                             ;   in Loop: Header=BB6_1018 Depth=2
	s_or_b64 exec, exec, s[78:79]
	s_or_b64 exec, exec, s[76:77]
	s_and_saveexec_b64 s[76:77], s[24:25]
	s_xor_b64 s[76:77], exec, s[76:77]
	s_cbranch_execnz .LBB6_1090
.LBB6_1134:                             ;   in Loop: Header=BB6_1018 Depth=2
	s_andn2_saveexec_b64 s[26:27], s[76:77]
	s_cbranch_execz .LBB6_1153
.LBB6_1135:                             ;   in Loop: Header=BB6_1018 Depth=2
	s_and_saveexec_b64 s[76:77], s[56:57]
	s_xor_b64 s[76:77], exec, s[76:77]
	s_cbranch_execz .LBB6_1150
; %bb.1136:                             ;   in Loop: Header=BB6_1018 Depth=2
	s_and_saveexec_b64 s[78:79], s[16:17]
	s_cbranch_execz .LBB6_1149
; %bb.1137:                             ;   in Loop: Header=BB6_1018 Depth=2
	s_mov_b64 s[90:91], exec
	v_mbcnt_lo_u32_b32 v0, s90, 0
	v_mbcnt_hi_u32_b32 v0, s91, v0
	v_cmp_eq_u32_e32 vcc, 0, v0
	;;#ASMSTART
	s_waitcnt lgkmcnt(0) vmcnt(0)
	;;#ASMEND
	s_and_saveexec_b64 s[88:89], vcc
	s_cbranch_execz .LBB6_1139
; %bb.1138:                             ;   in Loop: Header=BB6_1018 Depth=2
	s_bcnt1_i32_b64 s90, s[90:91]
	v_mov_b32_e32 v0, s90
	v_mov_b32_e32 v1, v23
	s_waitcnt lgkmcnt(0)
	ds_add_u64 v0, v[0:1]
	s_trap 2
.LBB6_1139:                             ;   in Loop: Header=BB6_1018 Depth=2
	s_or_b64 exec, exec, s[88:89]
	s_trap 2
	ds_read_b64 v[0:1], v0
	s_waitcnt vmcnt(0) lgkmcnt(0)
	v_add_co_u32_e32 v12, vcc, v12, v49
	v_addc_co_u32_e32 v13, vcc, 0, v13, vcc
	v_cmp_lt_u64_e32 vcc, v[0:1], v[12:13]
	s_and_saveexec_b64 s[88:89], vcc
	s_cbranch_execz .LBB6_1148
; %bb.1140:                             ;   in Loop: Header=BB6_1018 Depth=2
	s_mov_b32 s36, 0
	s_mov_b64 s[90:91], 0
                                        ; implicit-def: $sgpr92_sgpr93
                                        ; implicit-def: $sgpr94_sgpr95
	s_branch .LBB6_1142
.LBB6_1141:                             ;   in Loop: Header=BB6_1142 Depth=3
	s_or_b64 exec, exec, s[34:35]
	s_and_b64 vcc, exec, vcc
	s_or_b64 s[90:91], vcc, s[90:91]
	s_andn2_b64 s[92:93], s[92:93], exec
	s_and_b64 vcc, s[94:95], exec
	s_or_b64 s[92:93], s[92:93], vcc
	s_andn2_b64 exec, exec, s[90:91]
	s_cbranch_execz .LBB6_1146
.LBB6_1142:                             ;   Parent Loop BB6_47 Depth=1
                                        ;     Parent Loop BB6_1018 Depth=2
                                        ; =>    This Inner Loop Header: Depth=3
	s_add_i32 s36, s36, 1
	s_cmpk_lg_i32 s36, 0x2710
	s_cselect_b64 s[30:31], -1, 0
	s_and_b64 vcc, exec, s[30:31]
	s_cbranch_vccz .LBB6_1144
; %bb.1143:                             ;   in Loop: Header=BB6_1142 Depth=3
	s_mov_b64 vcc, -1
	s_or_b64 s[94:95], s[94:95], exec
	s_and_saveexec_b64 s[34:35], s[30:31]
	s_cbranch_execz .LBB6_1141
	s_branch .LBB6_1145
.LBB6_1144:                             ;   in Loop: Header=BB6_1142 Depth=3
	s_trap 2
	ds_read_b64 v[0:1], v0
	s_andn2_b64 s[30:31], s[30:31], exec
	s_mov_b32 s36, 0
	s_waitcnt lgkmcnt(0)
	flat_load_dword v0, v[0:1] glc
	s_waitcnt vmcnt(0) lgkmcnt(0)
	buffer_wbinvl1_vol
	v_cmp_eq_u32_e32 vcc, 0, v0
	s_and_b64 vcc, vcc, exec
	s_or_b64 s[30:31], s[30:31], vcc
	s_mov_b64 vcc, -1
	s_or_b64 s[94:95], s[94:95], exec
	s_and_saveexec_b64 s[34:35], s[30:31]
	s_cbranch_execz .LBB6_1141
.LBB6_1145:                             ;   in Loop: Header=BB6_1142 Depth=3
	s_sleep 1
	s_trap 2
	ds_read_b64 v[0:1], v0
	s_waitcnt lgkmcnt(0)
	s_andn2_b64 s[94:95], s[94:95], exec
	v_cmp_ge_u64_e32 vcc, v[0:1], v[12:13]
	s_orn2_b64 vcc, vcc, exec
	s_branch .LBB6_1141
.LBB6_1146:                             ;   in Loop: Header=BB6_1018 Depth=2
	s_or_b64 exec, exec, s[90:91]
	s_and_saveexec_b64 s[90:91], s[92:93]
	s_xor_b64 s[90:91], exec, s[90:91]
	s_cbranch_execz .LBB6_1148
; %bb.1147:                             ;   in Loop: Header=BB6_1018 Depth=2
	ds_write_b32 v0, v47
	s_trap 2
.LBB6_1148:                             ;   in Loop: Header=BB6_1018 Depth=2
	s_or_b64 exec, exec, s[88:89]
	;;#ASMSTART
	s_wakeup
	;;#ASMEND
.LBB6_1149:                             ;   in Loop: Header=BB6_1018 Depth=2
	s_or_b64 exec, exec, s[78:79]
.LBB6_1150:                             ;   in Loop: Header=BB6_1018 Depth=2
	s_andn2_saveexec_b64 s[76:77], s[76:77]
	s_cbranch_execz .LBB6_1152
; %bb.1151:                             ;   in Loop: Header=BB6_1018 Depth=2
	;;#ASMSTART
	s_waitcnt lgkmcnt(0) vmcnt(0)
	;;#ASMEND
	s_waitcnt vmcnt(0) lgkmcnt(0)
	s_barrier
.LBB6_1152:                             ;   in Loop: Header=BB6_1018 Depth=2
	s_or_b64 exec, exec, s[76:77]
.LBB6_1153:                             ;   in Loop: Header=BB6_1018 Depth=2
	s_or_b64 exec, exec, s[26:27]
	v_and_b32_e32 v0, 32, v62
	v_cmp_ne_u32_e32 vcc, 0, v0
	s_and_saveexec_b64 s[26:27], vcc
	s_cbranch_execz .LBB6_1017
; %bb.1154:                             ;   in Loop: Header=BB6_1018 Depth=2
	s_waitcnt vmcnt(0)
	v_add_co_u32_e32 v50, vcc, 2, v50
	v_addc_co_u32_e32 v51, vcc, 0, v51, vcc
	flat_store_dwordx2 v[60:61], v[50:51]
	s_branch .LBB6_1017
.LBB6_1155:                             ;   in Loop: Header=BB6_47 Depth=1
	s_or_b64 exec, exec, s[40:41]
.LBB6_1156:                             ;   in Loop: Header=BB6_47 Depth=1
	s_or_b64 exec, exec, s[28:29]
	v_cmp_gt_i32_e32 vcc, 2, v0
	s_mov_b64 s[28:29], exec
	buffer_load_dword v4, off, s[0:3], s33 offset:240 ; 4-byte Folded Reload
	buffer_load_dword v5, off, s[0:3], s33 offset:244 ; 4-byte Folded Reload
	s_and_b64 s[26:27], s[28:29], vcc
	s_mov_b64 exec, s[26:27]
	s_cbranch_execz .LBB6_46
; %bb.1157:                             ;   in Loop: Header=BB6_47 Depth=1
	v_cmp_eq_u32_e64 s[42:43], 0, v0
	s_mov_b64 s[40:41], 0
	s_branch .LBB6_1159
.LBB6_1158:                             ;   in Loop: Header=BB6_1159 Depth=2
	s_or_b64 exec, exec, s[26:27]
	v_add_u32_e32 v8, v54, v8
	s_mov_b64 s[42:43], 0
	s_andn2_b64 exec, exec, s[40:41]
	s_cbranch_execz .LBB6_45
.LBB6_1159:                             ;   Parent Loop BB6_47 Depth=1
                                        ; =>  This Loop Header: Depth=2
                                        ;       Child Loop BB6_1165 Depth 3
                                        ;       Child Loop BB6_1189 Depth 3
	;; [unrolled: 1-line block ×3, first 2 shown]
	v_and_b32_e32 v0, 4, v62
	v_cmp_ne_u32_e32 vcc, 0, v0
	s_and_saveexec_b64 s[76:77], vcc
	s_cbranch_execz .LBB6_1181
; %bb.1160:                             ;   in Loop: Header=BB6_1159 Depth=2
	s_waitcnt vmcnt(0)
	v_add_co_u32_e32 v9, vcc, 2, v50
	v_addc_co_u32_e32 v10, vcc, 0, v51, vcc
	s_waitcnt lgkmcnt(0)
	v_cmp_lt_u64_e32 vcc, v[26:27], v[9:10]
	s_and_saveexec_b64 s[78:79], vcc
	s_cbranch_execz .LBB6_1172
; %bb.1161:                             ;   in Loop: Header=BB6_1159 Depth=2
	v_and_b32_e32 v0, 64, v62
	s_mov_b32 s75, 0
	v_cmp_eq_u32_e32 vcc, 0, v0
	s_mov_b64 s[88:89], 0
                                        ; implicit-def: $sgpr90_sgpr91
                                        ; implicit-def: $sgpr92_sgpr93
                                        ; implicit-def: $sgpr94_sgpr95
	s_branch .LBB6_1165
.LBB6_1162:                             ;   in Loop: Header=BB6_1165 Depth=3
	s_waitcnt vmcnt(0) lgkmcnt(0)
	v_cmp_ge_u64_e64 s[26:27], v[26:27], v[9:10]
	s_or_b64 s[36:37], s[36:37], exec
	s_orn2_b64 s[34:35], s[26:27], exec
.LBB6_1163:                             ;   in Loop: Header=BB6_1165 Depth=3
	s_or_b64 exec, exec, s[48:49]
	s_andn2_b64 s[26:27], s[94:95], exec
	s_and_b64 s[94:95], s[36:37], exec
	s_or_b64 s[94:95], s[26:27], s[94:95]
	s_andn2_b64 s[26:27], s[92:93], exec
	s_and_b64 s[92:93], s[34:35], exec
	s_or_b64 s[92:93], s[26:27], s[92:93]
.LBB6_1164:                             ;   in Loop: Header=BB6_1165 Depth=3
	s_or_b64 exec, exec, s[30:31]
	s_and_b64 s[26:27], exec, s[92:93]
	s_or_b64 s[88:89], s[26:27], s[88:89]
	s_andn2_b64 s[26:27], s[90:91], exec
	s_and_b64 s[90:91], s[94:95], exec
	s_or_b64 s[90:91], s[26:27], s[90:91]
	s_andn2_b64 exec, exec, s[88:89]
	s_cbranch_execz .LBB6_1169
.LBB6_1165:                             ;   Parent Loop BB6_47 Depth=1
                                        ;     Parent Loop BB6_1159 Depth=2
                                        ; =>    This Inner Loop Header: Depth=3
	s_sleep 1
	s_waitcnt vmcnt(0) lgkmcnt(0)
	flat_load_dwordx2 v[26:27], v[60:61] glc
	s_or_b64 s[94:95], s[94:95], exec
	s_or_b64 s[92:93], s[92:93], exec
                                        ; implicit-def: $vgpr0
	s_and_saveexec_b64 s[30:31], vcc
	s_cbranch_execz .LBB6_1164
; %bb.1166:                             ;   in Loop: Header=BB6_1165 Depth=3
	s_cmpk_lt_i32 s75, 0x270f
	s_cselect_b64 s[38:39], -1, 0
	s_cmpk_gt_i32 s75, 0x270e
	s_mov_b64 s[34:35], -1
	s_cbranch_scc0 .LBB6_1168
; %bb.1167:                             ;   in Loop: Header=BB6_1165 Depth=3
	s_trap 2
	ds_read_b64 v[0:1], v0
	s_andn2_b64 s[38:39], s[38:39], exec
	s_mov_b32 s75, 0
	s_mov_b64 s[36:37], 0
	s_waitcnt vmcnt(0) lgkmcnt(0)
	flat_load_dword v0, v[0:1] glc
	s_waitcnt vmcnt(0) lgkmcnt(0)
	buffer_wbinvl1_vol
	v_cmp_eq_u32_e64 s[26:27], 0, v0
	s_and_b64 s[26:27], s[26:27], exec
	s_or_b64 s[38:39], s[38:39], s[26:27]
	s_and_saveexec_b64 s[48:49], s[38:39]
	s_cbranch_execz .LBB6_1163
	s_branch .LBB6_1162
.LBB6_1168:                             ;   in Loop: Header=BB6_1165 Depth=3
	s_add_i32 s75, s75, 1
	s_mov_b64 s[36:37], -1
                                        ; implicit-def: $vgpr0
	s_and_saveexec_b64 s[48:49], s[38:39]
	s_cbranch_execz .LBB6_1163
	s_branch .LBB6_1162
.LBB6_1169:                             ;   in Loop: Header=BB6_1159 Depth=2
	s_or_b64 exec, exec, s[88:89]
	s_xor_b64 s[26:27], s[90:91], -1
	s_and_saveexec_b64 s[88:89], s[26:27]
	s_xor_b64 s[26:27], exec, s[88:89]
	s_cbranch_execz .LBB6_1171
; %bb.1170:                             ;   in Loop: Header=BB6_1159 Depth=2
	v_or_b32_e32 v62, 64, v62
	s_waitcnt lgkmcnt(0)
	ds_write_b32 v0, v0
	s_trap 2
.LBB6_1171:                             ;   in Loop: Header=BB6_1159 Depth=2
	s_or_b64 exec, exec, s[26:27]
.LBB6_1172:                             ;   in Loop: Header=BB6_1159 Depth=2
	s_or_b64 exec, exec, s[78:79]
	v_and_b32_e32 v0, 0x100, v62
	v_cmp_ne_u32_e32 vcc, 0, v0
	v_and_b32_e32 v0, 7, v50
	s_mov_b64 s[26:27], -1
	;;#ASMSTART
	s_wakeup
	;;#ASMEND
                                        ; implicit-def: $vgpr36_vgpr37
	s_and_saveexec_b64 s[78:79], vcc
	s_cbranch_execz .LBB6_1176
; %bb.1173:                             ;   in Loop: Header=BB6_1159 Depth=2
	v_mad_u64_u32 v[38:39], s[26:27], v0, 24, v[19:20]
                                        ; implicit-def: $vgpr36_vgpr37
	flat_load_dword v1, v[38:39]
	s_waitcnt vmcnt(0) lgkmcnt(0)
	v_cmp_ne_u32_e32 vcc, 1, v1
	v_cmp_eq_u32_e64 s[26:27], 1, v1
	s_and_saveexec_b64 s[88:89], s[26:27]
	s_cbranch_execz .LBB6_1175
; %bb.1174:                             ;   in Loop: Header=BB6_1159 Depth=2
	flat_load_dword v1, v[38:39] offset:4 glc
	s_waitcnt vmcnt(0) lgkmcnt(0)
	v_ashrrev_i32_e32 v2, 31, v1
	v_lshrrev_b64 v[36:37], 2, v[1:2]
.LBB6_1175:                             ;   in Loop: Header=BB6_1159 Depth=2
	s_or_b64 exec, exec, s[88:89]
	s_orn2_b64 s[26:27], vcc, exec
.LBB6_1176:                             ;   in Loop: Header=BB6_1159 Depth=2
	s_or_b64 exec, exec, s[78:79]
	s_and_saveexec_b64 s[78:79], s[26:27]
; %bb.1177:                             ;   in Loop: Header=BB6_1159 Depth=2
	v_mad_i64_i32 v[36:37], s[26:27], v0, v58, 0
; %bb.1178:                             ;   in Loop: Header=BB6_1159 Depth=2
	s_or_b64 exec, exec, s[78:79]
	v_lshlrev_b64 v[0:1], 2, v[36:37]
	v_add_co_u32_e32 v0, vcc, v28, v0
	v_addc_co_u32_e32 v1, vcc, v29, v1, vcc
	ds_write_b64 v0, v[0:1] offset:720
	v_and_b32_e32 v0, 0x2000, v62
	v_cmp_ne_u32_e32 vcc, 0, v0
	s_and_saveexec_b64 s[26:27], vcc
	s_cbranch_execz .LBB6_1180
; %bb.1179:                             ;   in Loop: Header=BB6_1159 Depth=2
	ds_read_b64 v[0:1], v0 offset:872
	s_waitcnt lgkmcnt(0)
	v_add_co_u32_e32 v0, vcc, 1, v0
	v_addc_co_u32_e32 v1, vcc, 0, v1, vcc
	ds_write_b64 v0, v[0:1] offset:872
.LBB6_1180:                             ;   in Loop: Header=BB6_1159 Depth=2
	s_or_b64 exec, exec, s[26:27]
	v_mov_b32_e32 v51, v10
	v_mov_b32_e32 v50, v9
.LBB6_1181:                             ;   in Loop: Header=BB6_1159 Depth=2
	s_or_b64 exec, exec, s[76:77]
	s_xor_b64 s[26:27], s[42:43], -1
	s_and_b64 s[26:27], exec, s[26:27]
	s_or_b64 s[40:41], s[26:27], s[40:41]
	s_and_saveexec_b64 s[26:27], s[10:11]
	s_cbranch_execz .LBB6_1200
; %bb.1182:                             ;   in Loop: Header=BB6_1159 Depth=2
	s_and_saveexec_b64 s[42:43], s[56:57]
	s_xor_b64 s[42:43], exec, s[42:43]
	s_cbranch_execz .LBB6_1197
; %bb.1183:                             ;   in Loop: Header=BB6_1159 Depth=2
	s_and_saveexec_b64 s[76:77], s[16:17]
	s_cbranch_execz .LBB6_1196
; %bb.1184:                             ;   in Loop: Header=BB6_1159 Depth=2
	s_mov_b64 s[88:89], exec
	v_mbcnt_lo_u32_b32 v0, s88, 0
	v_mbcnt_hi_u32_b32 v0, s89, v0
	v_cmp_eq_u32_e32 vcc, 0, v0
	s_waitcnt vmcnt(0) lgkmcnt(0)
	buffer_wbinvl1_vol
	s_and_saveexec_b64 s[78:79], vcc
	s_cbranch_execz .LBB6_1186
; %bb.1185:                             ;   in Loop: Header=BB6_1159 Depth=2
	s_bcnt1_i32_b64 s75, s[88:89]
	v_mov_b32_e32 v0, s75
	v_mov_b32_e32 v1, v23
	ds_add_u64 v0, v[0:1]
	s_trap 2
.LBB6_1186:                             ;   in Loop: Header=BB6_1159 Depth=2
	s_or_b64 exec, exec, s[78:79]
	s_trap 2
	ds_read_b64 v[0:1], v0
	s_waitcnt lgkmcnt(0)
	v_add_co_u32_e32 v12, vcc, v12, v49
	v_addc_co_u32_e32 v13, vcc, 0, v13, vcc
	v_cmp_lt_u64_e32 vcc, v[0:1], v[12:13]
	s_and_saveexec_b64 s[78:79], vcc
	s_cbranch_execz .LBB6_1195
; %bb.1187:                             ;   in Loop: Header=BB6_1159 Depth=2
	s_mov_b32 s75, 0
	s_mov_b64 s[88:89], 0
                                        ; implicit-def: $sgpr90_sgpr91
                                        ; implicit-def: $sgpr92_sgpr93
	s_branch .LBB6_1189
.LBB6_1188:                             ;   in Loop: Header=BB6_1189 Depth=3
	s_or_b64 exec, exec, s[30:31]
	s_and_b64 s[94:95], exec, vcc
	s_or_b64 s[88:89], s[94:95], s[88:89]
	s_andn2_b64 s[90:91], s[90:91], exec
	s_and_b64 s[94:95], s[92:93], exec
	s_or_b64 s[90:91], s[90:91], s[94:95]
	s_andn2_b64 exec, exec, s[88:89]
	s_cbranch_execz .LBB6_1193
.LBB6_1189:                             ;   Parent Loop BB6_47 Depth=1
                                        ;     Parent Loop BB6_1159 Depth=2
                                        ; =>    This Inner Loop Header: Depth=3
	s_add_i32 s75, s75, 1
	s_cmpk_lg_i32 s75, 0x2710
	s_cselect_b64 s[94:95], -1, 0
	s_and_b64 vcc, exec, s[94:95]
	s_cbranch_vccz .LBB6_1191
; %bb.1190:                             ;   in Loop: Header=BB6_1189 Depth=3
	s_mov_b64 vcc, -1
	s_or_b64 s[92:93], s[92:93], exec
	s_and_saveexec_b64 s[30:31], s[94:95]
	s_cbranch_execz .LBB6_1188
	s_branch .LBB6_1192
.LBB6_1191:                             ;   in Loop: Header=BB6_1189 Depth=3
	s_trap 2
	ds_read_b64 v[0:1], v0
	s_andn2_b64 s[94:95], s[94:95], exec
	s_mov_b32 s75, 0
	s_waitcnt lgkmcnt(0)
	flat_load_dword v0, v[0:1] glc
	s_waitcnt vmcnt(0) lgkmcnt(0)
	buffer_wbinvl1_vol
	v_cmp_eq_u32_e32 vcc, 0, v0
	s_and_b64 vcc, vcc, exec
	s_or_b64 s[94:95], s[94:95], vcc
	s_mov_b64 vcc, -1
	s_or_b64 s[92:93], s[92:93], exec
	s_and_saveexec_b64 s[30:31], s[94:95]
	s_cbranch_execz .LBB6_1188
.LBB6_1192:                             ;   in Loop: Header=BB6_1189 Depth=3
	s_sleep 1
	s_trap 2
	ds_read_b64 v[0:1], v0
	s_waitcnt lgkmcnt(0)
	s_andn2_b64 s[92:93], s[92:93], exec
	v_cmp_ge_u64_e32 vcc, v[0:1], v[12:13]
	s_orn2_b64 vcc, vcc, exec
	s_branch .LBB6_1188
.LBB6_1193:                             ;   in Loop: Header=BB6_1159 Depth=2
	s_or_b64 exec, exec, s[88:89]
	s_and_saveexec_b64 s[88:89], s[90:91]
	s_xor_b64 s[88:89], exec, s[88:89]
	s_cbranch_execz .LBB6_1195
; %bb.1194:                             ;   in Loop: Header=BB6_1159 Depth=2
	ds_write_b32 v0, v47
	s_trap 2
.LBB6_1195:                             ;   in Loop: Header=BB6_1159 Depth=2
	s_or_b64 exec, exec, s[78:79]
	;;#ASMSTART
	s_wakeup
	;;#ASMEND
.LBB6_1196:                             ;   in Loop: Header=BB6_1159 Depth=2
	s_or_b64 exec, exec, s[76:77]
.LBB6_1197:                             ;   in Loop: Header=BB6_1159 Depth=2
	s_andn2_saveexec_b64 s[42:43], s[42:43]
	s_cbranch_execz .LBB6_1199
; %bb.1198:                             ;   in Loop: Header=BB6_1159 Depth=2
	s_waitcnt vmcnt(0) lgkmcnt(0)
	buffer_wbinvl1_vol
	s_barrier
.LBB6_1199:                             ;   in Loop: Header=BB6_1159 Depth=2
	s_or_b64 exec, exec, s[42:43]
.LBB6_1200:                             ;   in Loop: Header=BB6_1159 Depth=2
	s_or_b64 exec, exec, s[26:27]
	v_sub_u32_e32 v0, v3, v8
	v_min_i32_e32 v54, v54, v0
	s_and_saveexec_b64 s[26:27], s[24:25]
	s_xor_b64 s[26:27], exec, s[26:27]
	s_cbranch_execz .LBB6_1204
; %bb.1201:                             ;   in Loop: Header=BB6_1159 Depth=2
	s_trap 2
	ds_read_b32 v0, v0
	v_cmp_lt_i32_e32 vcc, 0, v54
	s_waitcnt lgkmcnt(0)
	v_readfirstlane_b32 s42, v0
	s_cmp_eq_u32 s42, 0
	s_cselect_b64 s[42:43], -1, 0
	v_and_b32_e32 v0, 16, v62
	s_and_b64 s[42:43], vcc, s[42:43]
	v_cmp_ne_u32_e32 vcc, 0, v0
	s_and_b64 s[76:77], vcc, s[42:43]
	s_and_saveexec_b64 s[42:43], s[76:77]
	s_cbranch_execz .LBB6_1203
; %bb.1202:                             ;   in Loop: Header=BB6_1159 Depth=2
	s_waitcnt vmcnt(0)
	buffer_wbinvl1_vol
.LBB6_1203:                             ;   in Loop: Header=BB6_1159 Depth=2
	s_or_b64 exec, exec, s[42:43]
.LBB6_1204:                             ;   in Loop: Header=BB6_1159 Depth=2
	s_andn2_saveexec_b64 s[26:27], s[26:27]
	s_cbranch_execz .LBB6_1223
; %bb.1205:                             ;   in Loop: Header=BB6_1159 Depth=2
	s_and_saveexec_b64 s[42:43], s[56:57]
	s_xor_b64 s[42:43], exec, s[42:43]
	s_cbranch_execz .LBB6_1220
; %bb.1206:                             ;   in Loop: Header=BB6_1159 Depth=2
	s_and_saveexec_b64 s[76:77], s[16:17]
	s_cbranch_execz .LBB6_1219
; %bb.1207:                             ;   in Loop: Header=BB6_1159 Depth=2
	s_mov_b64 s[88:89], exec
	v_mbcnt_lo_u32_b32 v0, s88, 0
	v_mbcnt_hi_u32_b32 v0, s89, v0
	v_cmp_eq_u32_e32 vcc, 0, v0
	;;#ASMSTART
	s_waitcnt lgkmcnt(0) vmcnt(0)
	;;#ASMEND
	s_and_saveexec_b64 s[78:79], vcc
	s_cbranch_execz .LBB6_1209
; %bb.1208:                             ;   in Loop: Header=BB6_1159 Depth=2
	s_bcnt1_i32_b64 s75, s[88:89]
	v_mov_b32_e32 v0, s75
	v_mov_b32_e32 v1, v23
	s_waitcnt lgkmcnt(0)
	ds_add_u64 v0, v[0:1]
	s_trap 2
.LBB6_1209:                             ;   in Loop: Header=BB6_1159 Depth=2
	s_or_b64 exec, exec, s[78:79]
	s_trap 2
	ds_read_b64 v[0:1], v0
	s_waitcnt vmcnt(0) lgkmcnt(0)
	v_add_co_u32_e32 v12, vcc, v12, v49
	v_addc_co_u32_e32 v13, vcc, 0, v13, vcc
	v_cmp_lt_u64_e32 vcc, v[0:1], v[12:13]
	s_and_saveexec_b64 s[78:79], vcc
	s_cbranch_execz .LBB6_1218
; %bb.1210:                             ;   in Loop: Header=BB6_1159 Depth=2
	s_mov_b32 s75, 0
	s_mov_b64 s[88:89], 0
                                        ; implicit-def: $sgpr90_sgpr91
                                        ; implicit-def: $sgpr92_sgpr93
	s_branch .LBB6_1212
.LBB6_1211:                             ;   in Loop: Header=BB6_1212 Depth=3
	s_or_b64 exec, exec, s[30:31]
	s_and_b64 s[94:95], exec, vcc
	s_or_b64 s[88:89], s[94:95], s[88:89]
	s_andn2_b64 s[90:91], s[90:91], exec
	s_and_b64 s[94:95], s[92:93], exec
	s_or_b64 s[90:91], s[90:91], s[94:95]
	s_andn2_b64 exec, exec, s[88:89]
	s_cbranch_execz .LBB6_1216
.LBB6_1212:                             ;   Parent Loop BB6_47 Depth=1
                                        ;     Parent Loop BB6_1159 Depth=2
                                        ; =>    This Inner Loop Header: Depth=3
	s_add_i32 s75, s75, 1
	s_cmpk_lg_i32 s75, 0x2710
	s_cselect_b64 s[94:95], -1, 0
	s_and_b64 vcc, exec, s[94:95]
	s_cbranch_vccz .LBB6_1214
; %bb.1213:                             ;   in Loop: Header=BB6_1212 Depth=3
	s_mov_b64 vcc, -1
	s_or_b64 s[92:93], s[92:93], exec
	s_and_saveexec_b64 s[30:31], s[94:95]
	s_cbranch_execz .LBB6_1211
	s_branch .LBB6_1215
.LBB6_1214:                             ;   in Loop: Header=BB6_1212 Depth=3
	s_trap 2
	ds_read_b64 v[0:1], v0
	s_andn2_b64 s[94:95], s[94:95], exec
	s_mov_b32 s75, 0
	s_waitcnt lgkmcnt(0)
	flat_load_dword v0, v[0:1] glc
	s_waitcnt vmcnt(0) lgkmcnt(0)
	buffer_wbinvl1_vol
	v_cmp_eq_u32_e32 vcc, 0, v0
	s_and_b64 vcc, vcc, exec
	s_or_b64 s[94:95], s[94:95], vcc
	s_mov_b64 vcc, -1
	s_or_b64 s[92:93], s[92:93], exec
	s_and_saveexec_b64 s[30:31], s[94:95]
	s_cbranch_execz .LBB6_1211
.LBB6_1215:                             ;   in Loop: Header=BB6_1212 Depth=3
	s_sleep 1
	s_trap 2
	ds_read_b64 v[0:1], v0
	s_waitcnt lgkmcnt(0)
	s_andn2_b64 s[92:93], s[92:93], exec
	v_cmp_ge_u64_e32 vcc, v[0:1], v[12:13]
	s_orn2_b64 vcc, vcc, exec
	s_branch .LBB6_1211
.LBB6_1216:                             ;   in Loop: Header=BB6_1159 Depth=2
	s_or_b64 exec, exec, s[88:89]
	s_and_saveexec_b64 s[88:89], s[90:91]
	s_xor_b64 s[88:89], exec, s[88:89]
	s_cbranch_execz .LBB6_1218
; %bb.1217:                             ;   in Loop: Header=BB6_1159 Depth=2
	ds_write_b32 v0, v47
	s_trap 2
.LBB6_1218:                             ;   in Loop: Header=BB6_1159 Depth=2
	s_or_b64 exec, exec, s[78:79]
	;;#ASMSTART
	s_wakeup
	;;#ASMEND
.LBB6_1219:                             ;   in Loop: Header=BB6_1159 Depth=2
	s_or_b64 exec, exec, s[76:77]
.LBB6_1220:                             ;   in Loop: Header=BB6_1159 Depth=2
	s_andn2_saveexec_b64 s[42:43], s[42:43]
	s_cbranch_execz .LBB6_1222
; %bb.1221:                             ;   in Loop: Header=BB6_1159 Depth=2
	;;#ASMSTART
	s_waitcnt lgkmcnt(0) vmcnt(0)
	;;#ASMEND
	s_waitcnt vmcnt(0) lgkmcnt(0)
	s_barrier
.LBB6_1222:                             ;   in Loop: Header=BB6_1159 Depth=2
	s_or_b64 exec, exec, s[42:43]
.LBB6_1223:                             ;   in Loop: Header=BB6_1159 Depth=2
	s_or_b64 exec, exec, s[26:27]
	v_and_b32_e32 v0, 32, v62
	v_cmp_ne_u32_e32 vcc, 0, v0
	s_and_saveexec_b64 s[26:27], vcc
	s_cbranch_execz .LBB6_1158
; %bb.1224:                             ;   in Loop: Header=BB6_1159 Depth=2
	s_waitcnt vmcnt(0)
	v_add_co_u32_e32 v50, vcc, 2, v50
	v_addc_co_u32_e32 v51, vcc, 0, v51, vcc
	flat_store_dwordx2 v[60:61], v[50:51]
	s_branch .LBB6_1158
.LBB6_1225:
	s_or_b64 exec, exec, s[58:59]
.LBB6_1226:
	s_or_b64 exec, exec, s[46:47]
	v_and_b32_e32 v0, 0x800, v62
	v_cmp_eq_u32_e32 vcc, 0, v0
	s_and_saveexec_b64 s[6:7], vcc
	s_cbranch_execz .LBB6_1259
; %bb.1227:
	v_and_b32_e32 v0, 48, v62
	v_cmp_ne_u32_e32 vcc, 0, v0
	s_and_saveexec_b64 s[4:5], vcc
	s_cbranch_execz .LBB6_1229
; %bb.1228:
	buffer_load_dword v0, off, s[0:3], s33 offset:316 ; 4-byte Folded Reload
	buffer_load_dword v1, off, s[0:3], s33 offset:320 ; 4-byte Folded Reload
	s_waitcnt vmcnt(0)
	flat_store_dwordx2 v[0:1], v[50:51] offset:104
.LBB6_1229:
	s_or_b64 exec, exec, s[4:5]
	s_movk_i32 s4, 0x88
	v_and_b32_e32 v0, 0x88, v62
	v_cmp_eq_u32_e32 vcc, s4, v0
	s_and_saveexec_b64 s[10:11], vcc
	s_cbranch_execz .LBB6_1239
; %bb.1230:
	v_add_u32_e32 v0, 6, v50
	v_and_b32_e32 v0, 7, v0
	v_mad_u64_u32 v[2:3], s[4:5], v0, 24, v[19:20]
	v_and_b32_e32 v4, 64, v62
	v_cmp_eq_u32_e64 s[4:5], 0, v4
	flat_load_dwordx2 v[0:1], v[2:3] offset:8 glc
	s_waitcnt vmcnt(0)
	s_mov_b32 s22, 0
	s_waitcnt lgkmcnt(0)
	v_cmp_ne_u64_e32 vcc, -1, v[0:1]
	s_and_b64 s[4:5], vcc, s[4:5]
	s_and_b64 exec, exec, s[4:5]
	s_cbranch_execz .LBB6_1239
; %bb.1231:
	s_mov_b64 s[4:5], 0
                                        ; implicit-def: $sgpr12_sgpr13
                                        ; implicit-def: $sgpr14_sgpr15
	s_branch .LBB6_1234
.LBB6_1232:                             ;   in Loop: Header=BB6_1234 Depth=1
	flat_load_dwordx2 v[4:5], v[2:3] offset:8 glc
	s_waitcnt vmcnt(0)
	s_andn2_b64 s[14:15], s[14:15], exec
	s_waitcnt lgkmcnt(0)
	v_cmp_eq_u64_e32 vcc, -1, v[4:5]
	s_orn2_b64 s[18:19], vcc, exec
.LBB6_1233:                             ;   in Loop: Header=BB6_1234 Depth=1
	s_or_b64 exec, exec, s[20:21]
	s_and_b64 s[16:17], exec, s[18:19]
	s_or_b64 s[4:5], s[16:17], s[4:5]
	s_andn2_b64 s[12:13], s[12:13], exec
	s_and_b64 s[16:17], s[14:15], exec
	s_or_b64 s[12:13], s[12:13], s[16:17]
	s_andn2_b64 exec, exec, s[4:5]
	s_cbranch_execz .LBB6_1237
.LBB6_1234:                             ; =>This Inner Loop Header: Depth=1
	s_cmpk_lt_i32 s22, 0x270f
	s_cselect_b64 s[16:17], -1, 0
	s_and_b64 vcc, exec, s[16:17]
	s_cbranch_vccnz .LBB6_1236
; %bb.1235:                             ;   in Loop: Header=BB6_1234 Depth=1
	s_trap 2
	ds_read_b64 v[0:1], v0
	s_andn2_b64 s[16:17], s[16:17], exec
	s_mov_b32 s22, 0
	s_waitcnt lgkmcnt(0)
	flat_load_dword v0, v[0:1] glc
	s_waitcnt vmcnt(0) lgkmcnt(0)
	buffer_wbinvl1_vol
	v_cmp_eq_u32_e32 vcc, 0, v0
	s_and_b64 s[18:19], vcc, exec
	s_or_b64 s[16:17], s[16:17], s[18:19]
	s_mov_b64 s[18:19], -1
	s_or_b64 s[14:15], s[14:15], exec
	s_and_saveexec_b64 s[20:21], s[16:17]
	s_cbranch_execz .LBB6_1233
	s_branch .LBB6_1232
.LBB6_1236:                             ;   in Loop: Header=BB6_1234 Depth=1
	s_add_i32 s22, s22, 1
                                        ; implicit-def: $vgpr0
	s_mov_b64 s[18:19], -1
	s_or_b64 s[14:15], s[14:15], exec
	s_and_saveexec_b64 s[20:21], s[16:17]
	s_cbranch_execz .LBB6_1233
	s_branch .LBB6_1232
.LBB6_1237:
	s_or_b64 exec, exec, s[4:5]
	s_and_saveexec_b64 s[4:5], s[12:13]
	s_xor_b64 s[4:5], exec, s[4:5]
	s_cbranch_execz .LBB6_1239
; %bb.1238:
	ds_write_b32 v0, v0
	s_trap 2
.LBB6_1239:
	s_or_b64 exec, exec, s[10:11]
	v_and_b32_e32 v0, 0x2000, v62
	v_cmp_ne_u32_e32 vcc, 0, v0
	s_and_saveexec_b64 s[4:5], vcc
	s_cbranch_execz .LBB6_1241
; %bb.1240:
	s_trap 2
	ds_read_b64 v[0:1], v0
	buffer_load_dword v2, off, s[0:3], s33 offset:332 ; 4-byte Folded Reload
	buffer_load_dword v3, off, s[0:3], s33 offset:336 ; 4-byte Folded Reload
	s_waitcnt vmcnt(0) lgkmcnt(0)
	flat_store_dwordx2 v[2:3], v[0:1] offset:16
.LBB6_1241:
	s_or_b64 exec, exec, s[4:5]
	buffer_load_dword v0, off, s[0:3], s33 offset:312 ; 4-byte Folded Reload
	s_waitcnt vmcnt(0)
	v_cmp_ne_u32_e32 vcc, 64, v0
	s_and_b64 exec, exec, vcc
	s_cbranch_execz .LBB6_1259
; %bb.1242:
	buffer_load_dword v0, off, s[0:3], s33 offset:312 ; 4-byte Folded Reload
	buffer_load_dword v1, off, s[0:3], s33 offset:328 ; 4-byte Folded Reload
	s_waitcnt vmcnt(0)
	v_cmp_ne_u32_sdwa s[4:5], v0, v1 src0_sel:DWORD src1_sel:WORD_0
	s_and_saveexec_b64 s[10:11], s[4:5]
	s_xor_b64 s[4:5], exec, s[10:11]
	s_cbranch_execz .LBB6_1257
; %bb.1243:
	buffer_load_dword v0, off, s[0:3], s33 offset:324 ; 4-byte Folded Reload
	s_waitcnt vmcnt(0)
	v_and_b32_e32 v0, 63, v0
	v_cmp_eq_u32_e32 vcc, 0, v0
	s_and_saveexec_b64 s[10:11], vcc
	s_cbranch_execz .LBB6_1256
; %bb.1244:
	s_mov_b64 s[14:15], exec
	v_mbcnt_lo_u32_b32 v0, s14, 0
	v_mbcnt_hi_u32_b32 v0, s15, v0
	v_cmp_eq_u32_e32 vcc, 0, v0
	s_waitcnt lgkmcnt(0)
	buffer_wbinvl1_vol
	s_and_saveexec_b64 s[12:13], vcc
	s_cbranch_execz .LBB6_1246
; %bb.1245:
	s_bcnt1_i32_b64 s14, s[14:15]
	v_mov_b32_e32 v0, s14
	v_mov_b32_e32 v1, 0
	ds_add_u64 v0, v[0:1]
	s_trap 2
.LBB6_1246:
	s_or_b64 exec, exec, s[12:13]
	buffer_load_dword v0, off, s[0:3], s33 offset:312 ; 4-byte Folded Reload
	s_trap 2
	s_waitcnt vmcnt(0)
	v_lshrrev_b32_e32 v0, 6, v0
	ds_read_b64 v[2:3], v0
	s_waitcnt lgkmcnt(0)
	v_add_co_u32_e32 v0, vcc, v12, v0
	v_addc_co_u32_e32 v1, vcc, 0, v13, vcc
	v_cmp_lt_u64_e32 vcc, v[2:3], v[0:1]
	s_and_saveexec_b64 s[12:13], vcc
	s_cbranch_execz .LBB6_1255
; %bb.1247:
	s_mov_b32 s26, 0
	s_mov_b64 s[14:15], 0
                                        ; implicit-def: $sgpr16_sgpr17
                                        ; implicit-def: $sgpr18_sgpr19
	s_branch .LBB6_1249
.LBB6_1248:                             ;   in Loop: Header=BB6_1249 Depth=1
	s_or_b64 exec, exec, s[22:23]
	s_and_b64 s[20:21], exec, s[24:25]
	s_or_b64 s[14:15], s[20:21], s[14:15]
	s_andn2_b64 s[16:17], s[16:17], exec
	s_and_b64 s[20:21], s[18:19], exec
	s_or_b64 s[16:17], s[16:17], s[20:21]
	s_andn2_b64 exec, exec, s[14:15]
	s_cbranch_execz .LBB6_1253
.LBB6_1249:                             ; =>This Inner Loop Header: Depth=1
	s_add_i32 s26, s26, 1
	s_cmpk_lg_i32 s26, 0x2710
	s_cselect_b64 s[20:21], -1, 0
	s_and_b64 vcc, exec, s[20:21]
	s_cbranch_vccz .LBB6_1251
; %bb.1250:                             ;   in Loop: Header=BB6_1249 Depth=1
	s_mov_b64 s[24:25], -1
	s_or_b64 s[18:19], s[18:19], exec
	s_and_saveexec_b64 s[22:23], s[20:21]
	s_cbranch_execz .LBB6_1248
	s_branch .LBB6_1252
.LBB6_1251:                             ;   in Loop: Header=BB6_1249 Depth=1
	s_trap 2
	ds_read_b64 v[2:3], v0
	s_andn2_b64 s[20:21], s[20:21], exec
	s_mov_b32 s26, 0
	s_waitcnt lgkmcnt(0)
	flat_load_dword v2, v[2:3] glc
	s_waitcnt vmcnt(0) lgkmcnt(0)
	buffer_wbinvl1_vol
	v_cmp_eq_u32_e32 vcc, 0, v2
	s_and_b64 s[22:23], vcc, exec
	s_or_b64 s[20:21], s[20:21], s[22:23]
	s_mov_b64 s[24:25], -1
	s_or_b64 s[18:19], s[18:19], exec
	s_and_saveexec_b64 s[22:23], s[20:21]
	s_cbranch_execz .LBB6_1248
.LBB6_1252:                             ;   in Loop: Header=BB6_1249 Depth=1
	s_sleep 1
	s_trap 2
	ds_read_b64 v[2:3], v0
	s_waitcnt lgkmcnt(0)
	s_andn2_b64 s[18:19], s[18:19], exec
	v_cmp_ge_u64_e32 vcc, v[2:3], v[0:1]
	s_orn2_b64 s[24:25], vcc, exec
	s_branch .LBB6_1248
.LBB6_1253:
	s_or_b64 exec, exec, s[14:15]
	s_and_saveexec_b64 s[14:15], s[16:17]
	s_xor_b64 s[14:15], exec, s[14:15]
	s_cbranch_execz .LBB6_1255
; %bb.1254:
	v_mov_b32_e32 v0, 1
	ds_write_b32 v0, v0
	s_trap 2
.LBB6_1255:
	s_or_b64 exec, exec, s[12:13]
	;;#ASMSTART
	s_wakeup
	;;#ASMEND
.LBB6_1256:
	s_or_b64 exec, exec, s[10:11]
.LBB6_1257:
	s_andn2_saveexec_b64 s[4:5], s[4:5]
	s_cbranch_execz .LBB6_1259
; %bb.1258:
	s_waitcnt lgkmcnt(0)
	buffer_wbinvl1_vol
	s_barrier
.LBB6_1259:
	s_or_b64 exec, exec, s[6:7]
.LBB6_1260:
	s_andn2_saveexec_b64 s[26:27], s[44:45]
	s_cbranch_execz .LBB6_1262
; %bb.1261:
	s_getpc_b64 s[4:5]
	s_add_u32 s4, s4, __PRETTY_FUNCTION__._ZN10PrimitivesIf8FuncProdIfE12FanSymmetricILi1EELi0E11ProtoSimpleILi2ELi2ELi0ELi4ELi0ELi0EELi0ELb0ELi0ELi0ELi0EEC2EiiPKiS8_PKvPvmhhhP15ncclDevWorkCollP14ncclDevWorkP2pii@rel32@lo+4
	s_addc_u32 s5, s5, __PRETTY_FUNCTION__._ZN10PrimitivesIf8FuncProdIfE12FanSymmetricILi1EELi0E11ProtoSimpleILi2ELi2ELi0ELi4ELi0ELi0EELi0ELb0ELi0ELi0ELi0EEC2EiiPKiS8_PKvPvmhhhP15ncclDevWorkCollP14ncclDevWorkP2pii@rel32@hi+12
	s_getpc_b64 s[6:7]
	s_add_u32 s6, s6, __assert_fail@rel32@lo+4
	s_addc_u32 s7, s7, __assert_fail@rel32@hi+12
	v_mov_b32_e32 v0, s4
	v_mov_b32_e32 v1, s5
	s_swappc_b64 s[30:31], s[6:7]
	; divergent unreachable
.LBB6_1262:
	s_or_b64 exec, exec, s[26:27]
	buffer_load_dword v62, off, s[0:3], s33 ; 4-byte Folded Reload
	buffer_load_dword v61, off, s[0:3], s33 offset:4 ; 4-byte Folded Reload
	buffer_load_dword v60, off, s[0:3], s33 offset:8 ; 4-byte Folded Reload
	;; [unrolled: 1-line block ×14, first 2 shown]
	v_readlane_b32 s30, v63, 32
	v_readlane_b32 s31, v63, 33
	v_readlane_b32 s97, v63, 31
	v_readlane_b32 s96, v63, 30
	v_readlane_b32 s87, v63, 29
	v_readlane_b32 s86, v63, 28
	v_readlane_b32 s85, v63, 27
	v_readlane_b32 s84, v63, 26
	v_readlane_b32 s83, v63, 25
	v_readlane_b32 s82, v63, 24
	v_readlane_b32 s81, v63, 23
	v_readlane_b32 s80, v63, 22
	v_readlane_b32 s71, v63, 21
	v_readlane_b32 s70, v63, 20
	v_readlane_b32 s69, v63, 19
	v_readlane_b32 s68, v63, 18
	v_readlane_b32 s67, v63, 17
	v_readlane_b32 s66, v63, 16
	v_readlane_b32 s65, v63, 15
	v_readlane_b32 s64, v63, 14
	v_readlane_b32 s55, v63, 13
	v_readlane_b32 s54, v63, 12
	v_readlane_b32 s53, v63, 11
	v_readlane_b32 s52, v63, 10
	v_readlane_b32 s51, v63, 9
	v_readlane_b32 s50, v63, 8
	v_readlane_b32 s49, v63, 7
	v_readlane_b32 s48, v63, 6
	v_readlane_b32 s39, v63, 5
	v_readlane_b32 s38, v63, 4
	v_readlane_b32 s37, v63, 3
	v_readlane_b32 s36, v63, 2
	v_readlane_b32 s35, v63, 1
	v_readlane_b32 s34, v63, 0
	s_mov_b32 s32, s33
	v_readlane_b32 s4, v63, 34
	s_or_saveexec_b64 s[6:7], -1
	buffer_load_dword v63, off, s[0:3], s33 offset:340 ; 4-byte Folded Reload
	s_mov_b64 exec, s[6:7]
	s_mov_b32 s33, s4
	s_waitcnt vmcnt(0) lgkmcnt(0)
	s_setpc_b64 s[30:31]
.Lfunc_end6:
	.size	_ZN12_GLOBAL__N_17runRingIf8FuncProdIfE11ProtoSimpleILi2ELi2ELi0ELi4ELi0ELi0EELi0ELi0ELi4ELi0EEEviiP15ncclDevWorkColl, .Lfunc_end6-_ZN12_GLOBAL__N_17runRingIf8FuncProdIfE11ProtoSimpleILi2ELi2ELi0ELi4ELi0ELi0EELi0ELi0ELi4ELi0EEEviiP15ncclDevWorkColl
                                        ; -- End function
	.set .L_ZN12_GLOBAL__N_17runRingIf8FuncProdIfE11ProtoSimpleILi2ELi2ELi0ELi4ELi0ELi0EELi0ELi0ELi4ELi0EEEviiP15ncclDevWorkColl.num_vgpr, max(64, .L__assert_fail.num_vgpr)
	.set .L_ZN12_GLOBAL__N_17runRingIf8FuncProdIfE11ProtoSimpleILi2ELi2ELi0ELi4ELi0ELi0EELi0ELi0ELi4ELi0EEEviiP15ncclDevWorkColl.num_agpr, max(0, .L__assert_fail.num_agpr)
	.set .L_ZN12_GLOBAL__N_17runRingIf8FuncProdIfE11ProtoSimpleILi2ELi2ELi0ELi4ELi0ELi0EELi0ELi0ELi4ELi0EEEviiP15ncclDevWorkColl.numbered_sgpr, max(98, .L__assert_fail.numbered_sgpr)
	.set .L_ZN12_GLOBAL__N_17runRingIf8FuncProdIfE11ProtoSimpleILi2ELi2ELi0ELi4ELi0ELi0EELi0ELi0ELi4ELi0EEEviiP15ncclDevWorkColl.num_named_barrier, max(0, .L__assert_fail.num_named_barrier)
	.set .L_ZN12_GLOBAL__N_17runRingIf8FuncProdIfE11ProtoSimpleILi2ELi2ELi0ELi4ELi0ELi0EELi0ELi0ELi4ELi0EEEviiP15ncclDevWorkColl.private_seg_size, 352+max(.L__assert_fail.private_seg_size)
	.set .L_ZN12_GLOBAL__N_17runRingIf8FuncProdIfE11ProtoSimpleILi2ELi2ELi0ELi4ELi0ELi0EELi0ELi0ELi4ELi0EEEviiP15ncclDevWorkColl.uses_vcc, or(1, .L__assert_fail.uses_vcc)
	.set .L_ZN12_GLOBAL__N_17runRingIf8FuncProdIfE11ProtoSimpleILi2ELi2ELi0ELi4ELi0ELi0EELi0ELi0ELi4ELi0EEEviiP15ncclDevWorkColl.uses_flat_scratch, or(0, .L__assert_fail.uses_flat_scratch)
	.set .L_ZN12_GLOBAL__N_17runRingIf8FuncProdIfE11ProtoSimpleILi2ELi2ELi0ELi4ELi0ELi0EELi0ELi0ELi4ELi0EEEviiP15ncclDevWorkColl.has_dyn_sized_stack, or(0, .L__assert_fail.has_dyn_sized_stack)
	.set .L_ZN12_GLOBAL__N_17runRingIf8FuncProdIfE11ProtoSimpleILi2ELi2ELi0ELi4ELi0ELi0EELi0ELi0ELi4ELi0EEEviiP15ncclDevWorkColl.has_recursion, or(1, .L__assert_fail.has_recursion)
	.set .L_ZN12_GLOBAL__N_17runRingIf8FuncProdIfE11ProtoSimpleILi2ELi2ELi0ELi4ELi0ELi0EELi0ELi0ELi4ELi0EEEviiP15ncclDevWorkColl.has_indirect_call, or(0, .L__assert_fail.has_indirect_call)
	.section	.AMDGPU.csdata,"",@progbits
; Function info:
; codeLenInByte = 42896
; TotalNumSgprs: 102
; NumVgprs: 64
; ScratchSize: 416
; MemoryBound: 1
	.text
	.p2align	2                               ; -- Begin function _Z48ncclDevFunc_AllReduce_RING_SIMPLE_Prod_f32_0_0_4v
	.type	_Z48ncclDevFunc_AllReduce_RING_SIMPLE_Prod_f32_0_0_4v,@function
_Z48ncclDevFunc_AllReduce_RING_SIMPLE_Prod_f32_0_0_4v: ; @_Z48ncclDevFunc_AllReduce_RING_SIMPLE_Prod_f32_0_0_4v
; %bb.0:
	s_waitcnt vmcnt(0) expcnt(0) lgkmcnt(0)
	s_mov_b32 s4, s33
	s_mov_b32 s33, s32
	s_or_saveexec_b64 s[6:7], -1
	buffer_store_dword v43, off, s[0:3], s33 offset:16 ; 4-byte Folded Spill
	buffer_store_dword v44, off, s[0:3], s33 offset:20 ; 4-byte Folded Spill
	s_mov_b64 exec, s[6:7]
	v_writelane_b32 v44, s4, 38
	v_writelane_b32 v44, s100, 36
	v_writelane_b32 v44, s101, 37
	s_addk_i32 s32, 0x800
	buffer_store_dword v40, off, s[0:3], s33 offset:8 ; 4-byte Folded Spill
	buffer_store_dword v41, off, s[0:3], s33 offset:4 ; 4-byte Folded Spill
	buffer_store_dword v42, off, s[0:3], s33 ; 4-byte Folded Spill
	v_writelane_b32 v44, s34, 0
	v_writelane_b32 v44, s35, 1
	;; [unrolled: 1-line block ×36, first 2 shown]
	s_trap 2
	ds_read_b32 v0, v0
                                        ; implicit-def: $vgpr43 : SGPR spill to VGPR lane
	v_mov_b32_e32 v40, v31
	s_mov_b32 s99, s12
	v_writelane_b32 v43, s8, 0
	v_writelane_b32 v43, s9, 1
	s_waitcnt lgkmcnt(0)
	v_cmp_gt_i32_e32 vcc, 1, v0
	s_cbranch_vccnz .LBB7_8
; %bb.1:
	s_mov_b32 s98, 0
	v_and_b32_e32 v41, 0x3ff, v40
	v_mov_b32_e32 v42, 6
	s_branch .LBB7_3
.LBB7_2:                                ;   in Loop: Header=BB7_3 Depth=1
	s_or_b64 exec, exec, s[6:7]
	s_trap 2
	ds_read_b32 v0, v0
	s_add_i32 s98, s98, 1
	s_waitcnt lgkmcnt(0)
	v_cmp_lt_i32_e32 vcc, s98, v0
	s_cbranch_vccz .LBB7_8
.LBB7_3:                                ; =>This Inner Loop Header: Depth=1
	s_trap 2
	ds_read_b32 v0, v0
	s_cmp_eq_u32 s98, 0
	s_cbranch_scc1 .LBB7_6
; %bb.4:                                ;   in Loop: Header=BB7_3 Depth=1
	s_trap 2
	s_waitcnt lgkmcnt(0)
	ds_read_b32 v1, v0
	s_waitcnt lgkmcnt(0)
	v_xor_b32_e32 v1, v1, v0
	v_and_b32_e32 v1, 0xff0000, v1
	v_cmp_eq_u32_e32 vcc, 0, v1
	s_cbranch_vccnz .LBB7_6
; %bb.5:                                ;   in Loop: Header=BB7_3 Depth=1
	s_waitcnt vmcnt(0)
	s_barrier
	ds_read_b32 v0, v0
.LBB7_6:                                ;   in Loop: Header=BB7_3 Depth=1
	s_waitcnt lgkmcnt(0)
	v_lshlrev_b32_sdwa v1, v42, v0 dst_sel:DWORD dst_unused:UNUSED_PAD src0_sel:DWORD src1_sel:BYTE_2
	v_cmp_lt_u32_e32 vcc, v41, v1
	s_and_saveexec_b64 s[6:7], vcc
	s_cbranch_execz .LBB7_2
; %bb.7:                                ;   in Loop: Header=BB7_3 Depth=1
	v_writelane_b32 v43, s6, 2
	s_mov_b64 s[4:5], src_shared_base
	v_writelane_b32 v43, s7, 3
	s_or_saveexec_b64 s[100:101], -1
	buffer_store_dword v43, off, s[0:3], s33 offset:12 ; 4-byte Folded Spill
	s_mov_b64 exec, s[100:101]
	v_readlane_b32 s8, v43, 0
	s_getpc_b64 s[6:7]
	s_add_u32 s6, s6, _ZN12_GLOBAL__N_17runRingIf8FuncProdIfE11ProtoSimpleILi2ELi2ELi0ELi4ELi0ELi0EELi0ELi0ELi4ELi0EEEviiP15ncclDevWorkColl@rel32@lo+4
	s_addc_u32 s7, s7, _ZN12_GLOBAL__N_17runRingIf8FuncProdIfE11ProtoSimpleILi2ELi2ELi0ELi4ELi0ELi0EELi0ELi0ELi4ELi0EEEviiP15ncclDevWorkColl@rel32@hi+12
	v_readlane_b32 s9, v43, 1
	s_mov_b32 s12, s99
	v_mov_b32_e32 v31, v40
	v_mov_b32_e32 v0, v41
	;; [unrolled: 1-line block ×3, first 2 shown]
	s_swappc_b64 s[30:31], s[6:7]
	s_or_saveexec_b64 s[100:101], -1
	buffer_load_dword v43, off, s[0:3], s33 offset:12 ; 4-byte Folded Reload
	s_mov_b64 exec, s[100:101]
	s_waitcnt vmcnt(0)
	v_readlane_b32 s6, v43, 2
	v_readlane_b32 s7, v43, 3
	s_branch .LBB7_2
.LBB7_8:
	buffer_load_dword v42, off, s[0:3], s33 ; 4-byte Folded Reload
	buffer_load_dword v41, off, s[0:3], s33 offset:4 ; 4-byte Folded Reload
	buffer_load_dword v40, off, s[0:3], s33 offset:8 ; 4-byte Folded Reload
	v_readlane_b32 s30, v44, 34
	v_readlane_b32 s31, v44, 35
	;; [unrolled: 1-line block ×36, first 2 shown]
	s_mov_b32 s32, s33
	v_readlane_b32 s4, v44, 38
	v_readlane_b32 s100, v44, 36
	;; [unrolled: 1-line block ×3, first 2 shown]
	s_or_saveexec_b64 s[6:7], -1
	buffer_load_dword v43, off, s[0:3], s33 offset:16 ; 4-byte Folded Reload
	buffer_load_dword v44, off, s[0:3], s33 offset:20 ; 4-byte Folded Reload
	s_mov_b64 exec, s[6:7]
	s_mov_b32 s33, s4
	s_waitcnt vmcnt(0)
	s_setpc_b64 s[30:31]
.Lfunc_end7:
	.size	_Z48ncclDevFunc_AllReduce_RING_SIMPLE_Prod_f32_0_0_4v, .Lfunc_end7-_Z48ncclDevFunc_AllReduce_RING_SIMPLE_Prod_f32_0_0_4v
                                        ; -- End function
	.set .L_Z48ncclDevFunc_AllReduce_RING_SIMPLE_Prod_f32_0_0_4v.num_vgpr, max(45, .L_ZN12_GLOBAL__N_17runRingIf8FuncProdIfE11ProtoSimpleILi2ELi2ELi0ELi4ELi0ELi0EELi0ELi0ELi4ELi0EEEviiP15ncclDevWorkColl.num_vgpr)
	.set .L_Z48ncclDevFunc_AllReduce_RING_SIMPLE_Prod_f32_0_0_4v.num_agpr, max(0, .L_ZN12_GLOBAL__N_17runRingIf8FuncProdIfE11ProtoSimpleILi2ELi2ELi0ELi4ELi0ELi0EELi0ELi0ELi4ELi0EEEviiP15ncclDevWorkColl.num_agpr)
	.set .L_Z48ncclDevFunc_AllReduce_RING_SIMPLE_Prod_f32_0_0_4v.numbered_sgpr, max(102, .L_ZN12_GLOBAL__N_17runRingIf8FuncProdIfE11ProtoSimpleILi2ELi2ELi0ELi4ELi0ELi0EELi0ELi0ELi4ELi0EEEviiP15ncclDevWorkColl.numbered_sgpr)
	.set .L_Z48ncclDevFunc_AllReduce_RING_SIMPLE_Prod_f32_0_0_4v.num_named_barrier, max(0, .L_ZN12_GLOBAL__N_17runRingIf8FuncProdIfE11ProtoSimpleILi2ELi2ELi0ELi4ELi0ELi0EELi0ELi0ELi4ELi0EEEviiP15ncclDevWorkColl.num_named_barrier)
	.set .L_Z48ncclDevFunc_AllReduce_RING_SIMPLE_Prod_f32_0_0_4v.private_seg_size, 32+max(.L_ZN12_GLOBAL__N_17runRingIf8FuncProdIfE11ProtoSimpleILi2ELi2ELi0ELi4ELi0ELi0EELi0ELi0ELi4ELi0EEEviiP15ncclDevWorkColl.private_seg_size)
	.set .L_Z48ncclDevFunc_AllReduce_RING_SIMPLE_Prod_f32_0_0_4v.uses_vcc, or(1, .L_ZN12_GLOBAL__N_17runRingIf8FuncProdIfE11ProtoSimpleILi2ELi2ELi0ELi4ELi0ELi0EELi0ELi0ELi4ELi0EEEviiP15ncclDevWorkColl.uses_vcc)
	.set .L_Z48ncclDevFunc_AllReduce_RING_SIMPLE_Prod_f32_0_0_4v.uses_flat_scratch, or(0, .L_ZN12_GLOBAL__N_17runRingIf8FuncProdIfE11ProtoSimpleILi2ELi2ELi0ELi4ELi0ELi0EELi0ELi0ELi4ELi0EEEviiP15ncclDevWorkColl.uses_flat_scratch)
	.set .L_Z48ncclDevFunc_AllReduce_RING_SIMPLE_Prod_f32_0_0_4v.has_dyn_sized_stack, or(0, .L_ZN12_GLOBAL__N_17runRingIf8FuncProdIfE11ProtoSimpleILi2ELi2ELi0ELi4ELi0ELi0EELi0ELi0ELi4ELi0EEEviiP15ncclDevWorkColl.has_dyn_sized_stack)
	.set .L_Z48ncclDevFunc_AllReduce_RING_SIMPLE_Prod_f32_0_0_4v.has_recursion, or(1, .L_ZN12_GLOBAL__N_17runRingIf8FuncProdIfE11ProtoSimpleILi2ELi2ELi0ELi4ELi0ELi0EELi0ELi0ELi4ELi0EEEviiP15ncclDevWorkColl.has_recursion)
	.set .L_Z48ncclDevFunc_AllReduce_RING_SIMPLE_Prod_f32_0_0_4v.has_indirect_call, or(0, .L_ZN12_GLOBAL__N_17runRingIf8FuncProdIfE11ProtoSimpleILi2ELi2ELi0ELi4ELi0ELi0EELi0ELi0ELi4ELi0EEEviiP15ncclDevWorkColl.has_indirect_call)
	.section	.AMDGPU.csdata,"",@progbits
; Function info:
; codeLenInByte = 1084
; TotalNumSgprs: 106
; NumVgprs: 64
; ScratchSize: 448
; MemoryBound: 0
	.section	.AMDGPU.gpr_maximums,"",@progbits
	.set amdgpu.max_num_vgpr, 64
	.set amdgpu.max_num_agpr, 0
	.set amdgpu.max_num_sgpr, 102
	.section	.AMDGPU.csdata,"",@progbits
	.type	__const.__assert_fail.fmt,@object ; @__const.__assert_fail.fmt
	.section	.rodata.str1.16,"aMS",@progbits,1
	.p2align	4, 0x0
__const.__assert_fail.fmt:
	.asciz	"%s:%u: %s: Device-side assertion `%s' failed.\n"
	.size	__const.__assert_fail.fmt, 47

	.type	.str.3,@object                  ; @.str.3
	.section	.rodata.str1.1,"aMS",@progbits,1
.str.3:
	.asciz	"2*(nrecv+nsend) <= nthreads"
	.size	.str.3, 28

	.type	.str.4,@object                  ; @.str.4
.str.4:
	.asciz	"/root/src/amdgpu-assembly/repos/ROCm__rccl/hipify/src/device/prims_simple.h"
	.size	.str.4, 76

	.type	__PRETTY_FUNCTION__._ZN10PrimitivesIf8FuncProdIfE12FanSymmetricILi1EELi0E11ProtoSimpleILi2ELi2ELi0ELi1ELi0ELi0EELi0ELb0ELi0ELi0ELi0EEC2EiiPKiS8_PKvPvmhhhP15ncclDevWorkCollP14ncclDevWorkP2pii,@object ; @__PRETTY_FUNCTION__._ZN10PrimitivesIf8FuncProdIfE12FanSymmetricILi1EELi0E11ProtoSimpleILi2ELi2ELi0ELi1ELi0ELi0EELi0ELb0ELi0ELi0ELi0EEC2EiiPKiS8_PKvPvmhhhP15ncclDevWorkCollP14ncclDevWorkP2pii
__PRETTY_FUNCTION__._ZN10PrimitivesIf8FuncProdIfE12FanSymmetricILi1EELi0E11ProtoSimpleILi2ELi2ELi0ELi1ELi0ELi0EELi0ELb0ELi0ELi0ELi0EEC2EiiPKiS8_PKvPvmhhhP15ncclDevWorkCollP14ncclDevWorkP2pii:
	.asciz	"Primitives<float, FuncProd<float>, FanSymmetric<1>, 0, ProtoSimple<2, 2, 0, 1>, 0>::Primitives(int, int, const int *, const int *, const void *, void *, uint64_t, uint8_t, uint8_t, uint8_t, struct ncclDevWorkColl *, struct ncclDevWorkP2p *, int, int) [T = float, RedOp = FuncProd<float>, Fan = FanSymmetric<1>, Direct = 0, Proto = ProtoSimple<2, 2, 0, 1>, P2p = 0, isNetOffload = false, Metadata = 0, Pipeline = 0, useAcc = 0]"
	.size	__PRETTY_FUNCTION__._ZN10PrimitivesIf8FuncProdIfE12FanSymmetricILi1EELi0E11ProtoSimpleILi2ELi2ELi0ELi1ELi0ELi0EELi0ELb0ELi0ELi0ELi0EEC2EiiPKiS8_PKvPvmhhhP15ncclDevWorkCollP14ncclDevWorkP2pii, 427

	.type	__PRETTY_FUNCTION__._ZN10PrimitivesIf8FuncProdIfE12FanSymmetricILi1EELi0E11ProtoSimpleILi2ELi2ELi0ELi2ELi0ELi0EELi0ELb0ELi0ELi0ELi0EEC2EiiPKiS8_PKvPvmhhhP15ncclDevWorkCollP14ncclDevWorkP2pii,@object ; @__PRETTY_FUNCTION__._ZN10PrimitivesIf8FuncProdIfE12FanSymmetricILi1EELi0E11ProtoSimpleILi2ELi2ELi0ELi2ELi0ELi0EELi0ELb0ELi0ELi0ELi0EEC2EiiPKiS8_PKvPvmhhhP15ncclDevWorkCollP14ncclDevWorkP2pii
__PRETTY_FUNCTION__._ZN10PrimitivesIf8FuncProdIfE12FanSymmetricILi1EELi0E11ProtoSimpleILi2ELi2ELi0ELi2ELi0ELi0EELi0ELb0ELi0ELi0ELi0EEC2EiiPKiS8_PKvPvmhhhP15ncclDevWorkCollP14ncclDevWorkP2pii:
	.asciz	"Primitives<float, FuncProd<float>, FanSymmetric<1>, 0, ProtoSimple<2, 2, 0, 2>, 0>::Primitives(int, int, const int *, const int *, const void *, void *, uint64_t, uint8_t, uint8_t, uint8_t, struct ncclDevWorkColl *, struct ncclDevWorkP2p *, int, int) [T = float, RedOp = FuncProd<float>, Fan = FanSymmetric<1>, Direct = 0, Proto = ProtoSimple<2, 2, 0, 2>, P2p = 0, isNetOffload = false, Metadata = 0, Pipeline = 0, useAcc = 0]"
	.size	__PRETTY_FUNCTION__._ZN10PrimitivesIf8FuncProdIfE12FanSymmetricILi1EELi0E11ProtoSimpleILi2ELi2ELi0ELi2ELi0ELi0EELi0ELb0ELi0ELi0ELi0EEC2EiiPKiS8_PKvPvmhhhP15ncclDevWorkCollP14ncclDevWorkP2pii, 427

	.type	__PRETTY_FUNCTION__._ZN10PrimitivesIf8FuncProdIfE12FanSymmetricILi1EELi0E11ProtoSimpleILi2ELi2ELi0ELi4ELi0ELi0EELi0ELb0ELi0ELi0ELi0EEC2EiiPKiS8_PKvPvmhhhP15ncclDevWorkCollP14ncclDevWorkP2pii,@object ; @__PRETTY_FUNCTION__._ZN10PrimitivesIf8FuncProdIfE12FanSymmetricILi1EELi0E11ProtoSimpleILi2ELi2ELi0ELi4ELi0ELi0EELi0ELb0ELi0ELi0ELi0EEC2EiiPKiS8_PKvPvmhhhP15ncclDevWorkCollP14ncclDevWorkP2pii
__PRETTY_FUNCTION__._ZN10PrimitivesIf8FuncProdIfE12FanSymmetricILi1EELi0E11ProtoSimpleILi2ELi2ELi0ELi4ELi0ELi0EELi0ELb0ELi0ELi0ELi0EEC2EiiPKiS8_PKvPvmhhhP15ncclDevWorkCollP14ncclDevWorkP2pii:
	.asciz	"Primitives<float, FuncProd<float>, FanSymmetric<1>, 0, ProtoSimple<2, 2, 0, 4>, 0>::Primitives(int, int, const int *, const int *, const void *, void *, uint64_t, uint8_t, uint8_t, uint8_t, struct ncclDevWorkColl *, struct ncclDevWorkP2p *, int, int) [T = float, RedOp = FuncProd<float>, Fan = FanSymmetric<1>, Direct = 0, Proto = ProtoSimple<2, 2, 0, 4>, P2p = 0, isNetOffload = false, Metadata = 0, Pipeline = 0, useAcc = 0]"
	.size	__PRETTY_FUNCTION__._ZN10PrimitivesIf8FuncProdIfE12FanSymmetricILi1EELi0E11ProtoSimpleILi2ELi2ELi0ELi4ELi0ELi0EELi0ELb0ELi0ELi0ELi0EEC2EiiPKiS8_PKvPvmhhhP15ncclDevWorkCollP14ncclDevWorkP2pii, 427

	.type	__hip_cuid_db2aff92a40d77ca,@object ; @__hip_cuid_db2aff92a40d77ca
	.section	.bss,"aw",@nobits
	.globl	__hip_cuid_db2aff92a40d77ca
__hip_cuid_db2aff92a40d77ca:
	.byte	0                               ; 0x0
	.size	__hip_cuid_db2aff92a40d77ca, 1

	.ident	"AMD clang version 22.0.0git (https://github.com/RadeonOpenCompute/llvm-project roc-7.2.4 26084 f58b06dce1f9c15707c5f808fd002e18c2accf7e)"
	.section	".note.GNU-stack","",@progbits
	.addrsig
	.addrsig_sym _Z48ncclDevFunc_AllReduce_RING_SIMPLE_Prod_f32_0_0_1v
	.addrsig_sym _Z48ncclDevFunc_AllReduce_RING_SIMPLE_Prod_f32_0_0_2v
	.addrsig_sym _Z48ncclDevFunc_AllReduce_RING_SIMPLE_Prod_f32_0_0_4v
	.addrsig_sym ncclShmem
	.addrsig_sym __hip_cuid_db2aff92a40d77ca
	.amdgpu_metadata
---
amdhsa.kernels:  []
amdhsa.target:   amdgcn-amd-amdhsa--gfx906
amdhsa.version:
  - 1
  - 2
...

	.end_amdgpu_metadata
